;; amdgpu-corpus repo=ROCm/aiter kind=harvested arch=n/a opt=n/a

/root/src/amdgpu-assembly/repos/ROCm__aiter/hsa/gfx950/fmoe/gelu/fmoe_bf16_pertokenInt8_g1u1_vs_multix_gelu_1tg_32x192.co:	file format elf64-amdgpu

Disassembly of section .text:

0000000000002e00 <_ZN5aiter53fmoe_bf16_pertokenInt8_g1u1_vs_multix_gelu_1tg_32x192E>:
	s_and_b32 s1, s1, 0xffff                                   // 000000002E00: 8601FF01 0000FFFF
	s_load_dwordx2 s[8:9], s[0:1], 0x0                         // 000000002E08: C0060200 00000000
	s_load_dwordx2 s[20:21], s[0:1], 0x10                      // 000000002E10: C0060500 00000010
	s_load_dwordx2 s[24:25], s[0:1], 0x20                      // 000000002E18: C0060600 00000020
	s_load_dwordx2 s[50:51], s[0:1], 0x30                      // 000000002E20: C0060C80 00000030
	s_load_dwordx2 s[12:13], s[0:1], 0x40                      // 000000002E28: C0060300 00000040
	s_load_dwordx2 s[28:29], s[0:1], 0x50                      // 000000002E30: C0060700 00000050
	s_load_dwordx2 s[32:33], s[0:1], 0x60                      // 000000002E38: C0060800 00000060
	s_load_dwordx2 s[16:17], s[0:1], 0x70                      // 000000002E40: C0060400 00000070
	s_load_dwordx2 s[36:37], s[0:1], 0x80                      // 000000002E48: C0060900 00000080
	s_load_dwordx2 s[44:45], s[0:1], 0x90                      // 000000002E50: C0060B00 00000090
	s_load_dwordx2 s[40:41], s[0:1], 0xa0                      // 000000002E58: C0060A00 000000A0
	s_load_dwordx2 s[46:47], s[0:1], 0xb0                      // 000000002E60: C0060B80 000000B0
	s_load_dword s64, s[0:1], 0xc0                             // 000000002E68: C0021000 000000C0
	s_load_dword s65, s[0:1], 0xd0                             // 000000002E70: C0021040 000000D0
	s_load_dword s66, s[0:1], 0xe0                             // 000000002E78: C0021080 000000E0
	s_load_dword s67, s[0:1], 0xf0                             // 000000002E80: C00210C0 000000F0
	s_load_dword s68, s[0:1], 0x100                            // 000000002E88: C0021100 00000100
	s_load_dword s69, s[0:1], 0x110                            // 000000002E90: C0021140 00000110
	s_load_dword s70, s[0:1], 0x120                            // 000000002E98: C0021180 00000120
	s_load_dword s71, s[0:1], 0x130                            // 000000002EA0: C00211C0 00000130
	s_load_dword s72, s[0:1], 0x140                            // 000000002EA8: C0021200 00000140
	s_load_dword s73, s[0:1], 0x150                            // 000000002EB0: C0021240 00000150
	s_load_dword s74, s[0:1], 0x160                            // 000000002EB8: C0021280 00000160
	s_load_dword s75, s[0:1], 0x170                            // 000000002EC0: C00212C0 00000170
	s_load_dword s76, s[0:1], 0x180                            // 000000002EC8: C0021300 00000180
	s_load_dword s63, s[0:1], 0x190                            // 000000002ED0: C0020FC0 00000190
	v_lshrrev_b32_e32 v1, 10, v0                               // 000000002ED8: 2002008A
	v_lshrrev_b32_e32 v2, 10, v1                               // 000000002EDC: 2004028A
	v_and_b32_e32 v2, 0x3ff, v2                                // 000000002EE0: 260404FF 000003FF
	v_and_b32_e32 v1, 0x3ff, v1                                // 000000002EE8: 260202FF 000003FF
	v_and_b32_e32 v0, 0x3ff, v0                                // 000000002EF0: 260000FF 000003FF
	v_lshrrev_b32_e32 v3, 6, v0                                // 000000002EF8: 20060086
	v_and_b32_e32 v0, 63, v0                                   // 000000002EFC: 260000BF
	s_mov_b32 s2, s2                                           // 000000002F00: BE820002
	s_mov_b32 s3, s3                                           // 000000002F04: BE830003
	s_mov_b32 s4, s4                                           // 000000002F08: BE840004
	v_readfirstlane_b32 s7, v3                                 // 000000002F0C: 7E0E0503
	s_waitcnt lgkmcnt(0)                                       // 000000002F10: BF8CC07F
	s_and_b32 s51, s51, 0xffff                                 // 000000002F14: 8633FF33 0000FFFF
	s_load_dword s50, s[50:51], 0x0                            // 000000002F1C: C0020C99 00000000
	s_and_b32 s45, s45, 0xffff                                 // 000000002F24: 862DFF2D 0000FFFF
	s_and_b32 s47, s47, 0xffff                                 // 000000002F2C: 862FFF2F 0000FFFF
	s_and_b32 s9, s9, 0xffff                                   // 000000002F34: 8609FF09 0000FFFF
	s_mul_i32 s60, s66, s68                                    // 000000002F3C: 923C4442
	s_mul_i32 s60, s63, s60                                    // 000000002F40: 923C3C3F
	s_mul_i32 s61, s66, 4                                      // 000000002F44: 923D8442
	s_mul_i32 s61, s63, s61                                    // 000000002F48: 923D3D3F
	s_mov_b32 s22, s60                                         // 000000002F4C: BE96003C
	s_mov_b32 s26, -16                                         // 000000002F50: BE9A00D0
	s_mov_b32 s14, -16                                         // 000000002F54: BE8E00D0
	s_mov_b32 s42, -16                                         // 000000002F58: BEAA00D0
	s_mov_b32 s30, s61                                         // 000000002F5C: BE9E003D
	s_mov_b32 s34, 0x300                                       // 000000002F60: BEA200FF 00000300
	s_mov_b32 s38, 0x300                                       // 000000002F68: BEA600FF 00000300
	s_mov_b32 s18, -16                                         // 000000002F70: BE9200D0
	s_mov_b32 s23, 0x20000                                     // 000000002F74: BE9700FF 00020000
	s_mov_b32 s27, 0x20000                                     // 000000002F7C: BE9B00FF 00020000
	s_mov_b32 s15, 0x20000                                     // 000000002F84: BE8F00FF 00020000
	s_mov_b32 s43, 0x20000                                     // 000000002F8C: BEAB00FF 00020000
	s_mov_b32 s31, 0x20000                                     // 000000002F94: BE9F00FF 00020000
	s_mov_b32 s35, 0x20000                                     // 000000002F9C: BEA300FF 00020000
	s_mov_b32 s39, 0x20000                                     // 000000002FA4: BEA700FF 00020000
	s_mov_b32 s19, 0x20000                                     // 000000002FAC: BE9300FF 00020000
	s_and_b32 s21, s21, 0xffff                                 // 000000002FB4: 8615FF15 0000FFFF
	s_and_b32 s25, s25, 0xffff                                 // 000000002FBC: 8619FF19 0000FFFF
	s_and_b32 s13, s13, 0xffff                                 // 000000002FC4: 860DFF0D 0000FFFF
	s_and_b32 s41, s41, 0xffff                                 // 000000002FCC: 8629FF29 0000FFFF
	s_and_b32 s29, s29, 0xffff                                 // 000000002FD4: 861DFF1D 0000FFFF
	s_and_b32 s33, s33, 0xffff                                 // 000000002FDC: 8621FF21 0000FFFF
	s_and_b32 s37, s37, 0xffff                                 // 000000002FE4: 8625FF25 0000FFFF
	s_and_b32 s17, s17, 0xffff                                 // 000000002FEC: 8611FF11 0000FFFF
	s_or_b32 s21, s21, 0x40000                                 // 000000002FF4: 8715FF15 00040000
	s_or_b32 s25, s25, 0x40000                                 // 000000002FFC: 8719FF19 00040000
	s_or_b32 s13, s13, 0x40000                                 // 000000003004: 870DFF0D 00040000
	s_or_b32 s41, s41, 0x40000                                 // 00000000300C: 8729FF29 00040000
	s_or_b32 s29, s29, 0x40000                                 // 000000003014: 871DFF1D 00040000
	s_or_b32 s33, s33, 0x40000                                 // 00000000301C: 8721FF21 00040000
	s_or_b32 s37, s37, 0x40000                                 // 000000003024: 8725FF25 00040000
	s_or_b32 s17, s17, 0x40000                                 // 00000000302C: 8711FF11 00040000
	v_accvgpr_write_b32 a95, 0                                 // 000000003034: D3D9405F 18000080
	v_mov_b32_e32 v215, 0                                      // 00000000303C: 7FAE0280
	s_waitcnt lgkmcnt(0)                                       // 000000003040: BF8CC07F
	s_mul_i32 s60, s3, 32                                      // 000000003044: 923CA003
	s_cmp_lt_i32 s60, s50                                      // 000000003048: BF04323C
	s_cbranch_scc0 label_1812                                  // 00000000304C: BF84177E
	s_mov_b32 s80, 0                                           // 000000003050: BED00080
	s_mov_b32 s81, s64                                         // 000000003054: BED10040
	s_mul_i32 s60, s3, 4                                       // 000000003058: 923C8403
	s_add_u32 s46, s60, s46                                    // 00000000305C: 802E2E3C
	s_addc_u32 s47, 0, s47                                     // 000000003060: 822F2F80
	s_load_dword s5, s[46:47], 0x0                             // 000000003064: C0020157 00000000
	s_mul_i32 s60, s3, 32                                      // 00000000306C: 923CA003
	s_mul_i32 s60, 4, s60                                      // 000000003070: 923C3C84
	v_and_b32_e32 v44, 15, v0                                  // 000000003074: 2658008F
	v_lshlrev_b32_e32 v44, 2, v44                              // 000000003078: 24585882
	v_add_u32_e32 v44, s60, v44                                // 00000000307C: 6858583C
	v_mov_b32_e32 v45, 0                                       // 000000003080: 7E5A0280
	global_load_dword v6, v44, s[44:45]                        // 000000003084: DC508000 062C002C
	v_add_u32_e32 v44, 64, v44                                 // 00000000308C: 685858C0
	global_load_dword v7, v44, s[44:45]                        // 000000003090: DC508000 072C002C
	s_mul_i32 s60, s3, 32                                      // 000000003098: 923CA003
	s_add_u32 s60, s7, s60                                     // 00000000309C: 803C3C07
	s_mul_i32 s60, 4, s60                                      // 0000000030A0: 923C3C84
	s_add_u32 s44, s60, s44                                    // 0000000030A4: 802C2C3C
	s_addc_u32 s45, 0, s45                                     // 0000000030A8: 822D2D80
	s_load_dword s82, s[44:45], 0x0                            // 0000000030AC: C0021496 00000000
	s_load_dword s83, s[44:45], 0x10                           // 0000000030B4: C00214D6 00000010
	s_load_dword s84, s[44:45], 0x20                           // 0000000030BC: C0021516 00000020
	s_load_dword s85, s[44:45], 0x30                           // 0000000030C4: C0021556 00000030
	s_load_dword s86, s[44:45], 0x40                           // 0000000030CC: C0021596 00000040
	s_load_dword s87, s[44:45], 0x50                           // 0000000030D4: C00215D6 00000050
	s_load_dword s88, s[44:45], 0x60                           // 0000000030DC: C0021616 00000060
	s_load_dword s89, s[44:45], 0x70                           // 0000000030E4: C0021656 00000070
	s_waitcnt lgkmcnt(0)                                       // 0000000030EC: BF8CC07F
	v_lshlrev_b32_e32 v44, 2, v0                               // 0000000030F0: 24580082
	s_lshr_b32 s61, s82, 24                                    // 0000000030F4: 8F3D9852
	s_mul_i32 s61, s61, s68                                    // 0000000030F8: 923D443D
	s_mul_i32 s61, s61, s66                                    // 0000000030FC: 923D423D
	s_and_b32 s82, s82, 0xffffff                               // 000000003100: 8652FF52 00FFFFFF
	s_mul_i32 s60, s82, s68                                    // 000000003108: 923C4452
	s_add_u32 s60, s61, s60                                    // 00000000310C: 803C3C3D
	v_add_u32_e64 v24, v44, s60                                // 000000003110: D1340018 0000792C
	s_lshr_b32 s61, s83, 24                                    // 000000003118: 8F3D9853
	s_mul_i32 s61, s61, s68                                    // 00000000311C: 923D443D
	s_mul_i32 s61, s61, s66                                    // 000000003120: 923D423D
	s_and_b32 s83, s83, 0xffffff                               // 000000003124: 8653FF53 00FFFFFF
	s_mul_i32 s60, s83, s68                                    // 00000000312C: 923C4453
	s_add_u32 s60, s61, s60                                    // 000000003130: 803C3C3D
	v_add_u32_e64 v25, v44, s60                                // 000000003134: D1340019 0000792C
	s_lshr_b32 s61, s84, 24                                    // 00000000313C: 8F3D9854
	s_mul_i32 s61, s61, s68                                    // 000000003140: 923D443D
	s_mul_i32 s61, s61, s66                                    // 000000003144: 923D423D
	s_and_b32 s84, s84, 0xffffff                               // 000000003148: 8654FF54 00FFFFFF
	s_mul_i32 s60, s84, s68                                    // 000000003150: 923C4454
	s_add_u32 s60, s61, s60                                    // 000000003154: 803C3C3D
	v_add_u32_e64 v26, v44, s60                                // 000000003158: D134001A 0000792C
	s_lshr_b32 s61, s85, 24                                    // 000000003160: 8F3D9855
	s_mul_i32 s61, s61, s68                                    // 000000003164: 923D443D
	s_mul_i32 s61, s61, s66                                    // 000000003168: 923D423D
	s_and_b32 s85, s85, 0xffffff                               // 00000000316C: 8655FF55 00FFFFFF
	s_mul_i32 s60, s85, s68                                    // 000000003174: 923C4455
	s_add_u32 s60, s61, s60                                    // 000000003178: 803C3C3D
	v_add_u32_e64 v27, v44, s60                                // 00000000317C: D134001B 0000792C
	s_lshr_b32 s61, s86, 24                                    // 000000003184: 8F3D9856
	s_mul_i32 s61, s61, s68                                    // 000000003188: 923D443D
	s_mul_i32 s61, s61, s66                                    // 00000000318C: 923D423D
	s_and_b32 s86, s86, 0xffffff                               // 000000003190: 8656FF56 00FFFFFF
	s_mul_i32 s60, s86, s68                                    // 000000003198: 923C4456
	s_add_u32 s60, s61, s60                                    // 00000000319C: 803C3C3D
	v_add_u32_e64 v28, v44, s60                                // 0000000031A0: D134001C 0000792C
	s_lshr_b32 s61, s87, 24                                    // 0000000031A8: 8F3D9857
	s_mul_i32 s61, s61, s68                                    // 0000000031AC: 923D443D
	s_mul_i32 s61, s61, s66                                    // 0000000031B0: 923D423D
	s_and_b32 s87, s87, 0xffffff                               // 0000000031B4: 8657FF57 00FFFFFF
	s_mul_i32 s60, s87, s68                                    // 0000000031BC: 923C4457
	s_add_u32 s60, s61, s60                                    // 0000000031C0: 803C3C3D
	v_add_u32_e64 v29, v44, s60                                // 0000000031C4: D134001D 0000792C
	s_lshr_b32 s61, s88, 24                                    // 0000000031CC: 8F3D9858
	s_mul_i32 s61, s61, s68                                    // 0000000031D0: 923D443D
	s_mul_i32 s61, s61, s66                                    // 0000000031D4: 923D423D
	s_and_b32 s88, s88, 0xffffff                               // 0000000031D8: 8658FF58 00FFFFFF
	s_mul_i32 s60, s88, s68                                    // 0000000031E0: 923C4458
	s_add_u32 s60, s61, s60                                    // 0000000031E4: 803C3C3D
	v_add_u32_e64 v30, v44, s60                                // 0000000031E8: D134001E 0000792C
	s_lshr_b32 s61, s89, 24                                    // 0000000031F0: 8F3D9859
	s_mul_i32 s61, s61, s68                                    // 0000000031F4: 923D443D
	s_mul_i32 s61, s61, s66                                    // 0000000031F8: 923D423D
	s_and_b32 s89, s89, 0xffffff                               // 0000000031FC: 8659FF59 00FFFFFF
	s_mul_i32 s60, s89, s68                                    // 000000003204: 923C4459
	s_add_u32 s60, s61, s60                                    // 000000003208: 803C3C3D
	v_add_u32_e64 v31, v44, s60                                // 00000000320C: D134001F 0000792C
	v_lshlrev_b32_e32 v44, 2, v0                               // 000000003214: 24580082
	s_mul_i32 s60, s82, s71                                    // 000000003218: 923C4752
	v_add_u32_e64 v80, v44, s60                                // 00000000321C: D1340050 0000792C
	v_mov_b32_e32 v81, 0                                       // 000000003224: 7EA20280
	s_mul_i32 s60, s83, s71                                    // 000000003228: 923C4753
	v_add_u32_e64 v82, v44, s60                                // 00000000322C: D1340052 0000792C
	v_mov_b32_e32 v83, 0                                       // 000000003234: 7EA60280
	s_mul_i32 s60, s84, s71                                    // 000000003238: 923C4754
	v_add_u32_e64 v84, v44, s60                                // 00000000323C: D1340054 0000792C
	v_mov_b32_e32 v85, 0                                       // 000000003244: 7EAA0280
	s_mul_i32 s60, s85, s71                                    // 000000003248: 923C4755
	v_add_u32_e64 v86, v44, s60                                // 00000000324C: D1340056 0000792C
	v_mov_b32_e32 v87, 0                                       // 000000003254: 7EAE0280
	s_mul_i32 s60, s86, s71                                    // 000000003258: 923C4756
	v_add_u32_e64 v88, v44, s60                                // 00000000325C: D1340058 0000792C
	v_mov_b32_e32 v89, 0                                       // 000000003264: 7EB20280
	s_mul_i32 s60, s87, s71                                    // 000000003268: 923C4757
	v_add_u32_e64 v90, v44, s60                                // 00000000326C: D134005A 0000792C
	v_mov_b32_e32 v91, 0                                       // 000000003274: 7EB60280
	s_mul_i32 s60, s88, s71                                    // 000000003278: 923C4758
	v_add_u32_e64 v92, v44, s60                                // 00000000327C: D134005C 0000792C
	v_mov_b32_e32 v93, 0                                       // 000000003284: 7EBA0280
	s_mul_i32 s60, s89, s71                                    // 000000003288: 923C4759
	v_add_u32_e64 v94, v44, s60                                // 00000000328C: D134005E 0000792C
	v_mov_b32_e32 v95, 0                                       // 000000003294: 7EBE0280
	s_mul_i32 s60, s7, 0x820                                   // 000000003298: 923CFF07 00000820
	s_add_u32 s50, 0, s60                                      // 0000000032A0: 80323C80
	s_add_u32 s51, 0x2080, s50                                 // 0000000032A4: 803332FF 00002080
	v_lshrrev_b32_e32 v44, 4, v0                               // 0000000032AC: 20580084
	v_lshlrev_b32_e32 v45, 2, v44                              // 0000000032B0: 245A5882
	v_and_b32_e32 v44, 15, v0                                  // 0000000032B4: 2658008F
	v_lshrrev_b32_e32 v46, 2, v44                              // 0000000032B8: 205C5882
	v_lshlrev_b32_e32 v46, 6, v46                              // 0000000032BC: 245C5C86
	v_add_u32_e32 v45, v46, v45                                // 0000000032C0: 685A5B2E
	v_and_b32_e32 v44, 3, v0                                   // 0000000032C4: 26580083
	v_mul_i32_i24_e32 v46, 0x208, v44                          // 0000000032C8: 0C5C58FF 00000208
	v_add_u32_e32 v45, v46, v45                                // 0000000032D0: 685A5B2E
	v_lshlrev_b32_e32 v2, 2, v45                               // 0000000032D4: 24045A82
	s_mul_i32 s60, s2, 0xc0                                    // 0000000032D8: 923CFF02 000000C0
	s_mul_i32 s60, s60, s69                                    // 0000000032E0: 923C453C
	s_mul_i32 s61, s5, s72                                     // 0000000032E4: 923D4805
	s_add_u32 s60, s61, s60                                    // 0000000032E8: 803C3C3D
	s_add_u32 s24, s60, s24                                    // 0000000032EC: 8018183C
	s_addc_u32 s25, 0, s25                                     // 0000000032F0: 82191980
	s_mul_i32 s60, s7, 16                                      // 0000000032F4: 923C9007
	s_mul_i32 s60, s60, s69                                    // 0000000032F8: 923C453C
	v_lshlrev_b32_e32 v32, 4, v0                               // 0000000032FC: 24400084
	v_add_u32_e32 v32, s60, v32                                // 000000003300: 6840403C
	s_mul_i32 s60, 64, s69                                     // 000000003304: 923C45C0
	v_add_u32_e32 v33, s60, v32                                // 000000003308: 6842403C
	v_add_u32_e32 v34, s60, v33                                // 00000000330C: 6844423C
	s_mov_b32 s92, s24                                         // 000000003310: BEDC0018
	s_mov_b32 s93, s25                                         // 000000003314: BEDD0019
	s_mov_b32 s94, s26                                         // 000000003318: BEDE001A
	s_mov_b32 s95, s27                                         // 00000000331C: BEDF001B
	s_mul_i32 s60, s69, s65                                    // 000000003320: 923C4145
	s_add_u32 s92, s60, s92                                    // 000000003324: 805C5C3C
	s_addc_u32 s93, 0, s93                                     // 000000003328: 825D5D80
	s_mul_i32 s60, s2, 0xc00                                   // 00000000332C: 923CFF02 00000C00
	s_mul_i32 s61, s5, s73                                     // 000000003334: 923D4905
	s_add_u32 s60, s61, s60                                    // 000000003338: 803C3C3D
	s_add_u32 s12, s60, s12                                    // 00000000333C: 800C0C3C
	s_addc_u32 s13, 0, s13                                     // 000000003340: 820D0D80
	s_mul_i32 s60, s7, 16                                      // 000000003344: 923C9007
	s_mul_i32 s60, s60, s70                                    // 000000003348: 923C463C
	v_lshlrev_b32_e32 v35, 4, v0                               // 00000000334C: 24460084
	v_add_u32_e32 v35, s60, v35                                // 000000003350: 6846463C
	s_mul_i32 s60, 64, s70                                     // 000000003354: 923C46C0
	v_add_u32_e32 v36, s60, v35                                // 000000003358: 6848463C
	v_add_u32_e32 v37, s60, v36                                // 00000000335C: 684A483C
	v_add_u32_e32 v38, s60, v37                                // 000000003360: 684C4A3C
	s_mul_i32 s60, s70, 0x100                                  // 000000003364: 923CFF46 00000100
	s_mov_b32 s78, 0x400                                       // 00000000336C: BECE00FF 00000400
	s_mul_i32 s61, s78, 2                                      // 000000003374: 923D824E
	s_sub_u32 s56, s60, s61                                    // 000000003378: 80B83D3C
	s_mul_i32 s60, s3, 32                                      // 00000000337C: 923CA003
	s_mul_i32 s60, 4, s60                                      // 000000003380: 923C3C84
	s_add_u32 s40, s60, s40                                    // 000000003384: 8028283C
	s_addc_u32 s41, 0, s41                                     // 000000003388: 82292980
	v_and_b32_e32 v44, 15, v0                                  // 00000000338C: 2658008F
	v_lshlrev_b32_e32 v8, 2, v44                               // 000000003390: 24105882
	v_add_u32_e32 v9, 64, v8                                   // 000000003394: 681210C0
	v_lshrrev_b32_e32 v44, 4, v0                               // 000000003398: 20580084
	v_lshlrev_b32_e32 v45, 2, v44                              // 00000000339C: 245A5882
	v_and_b32_e32 v44, 15, v0                                  // 0000000033A0: 2658008F
	v_lshrrev_b32_e32 v46, 2, v44                              // 0000000033A4: 205C5882
	v_lshlrev_b32_e32 v46, 6, v46                              // 0000000033A8: 245C5C86
	v_add_u32_e32 v45, v46, v45                                // 0000000033AC: 685A5B2E
	v_and_b32_e32 v44, 3, v0                                   // 0000000033B0: 26580083
	v_add_u32_e32 v45, v44, v45                                // 0000000033B4: 685A5B2C
	v_lshlrev_b32_e32 v10, 2, v45                              // 0000000033B8: 24145A82
	v_add_u32_e32 v11, 0x400, v10                              // 0000000033BC: 681614FF 00000400
	s_mul_i32 s60, s7, 16                                      // 0000000033C4: 923C9007
	s_mul_i32 s60, s60, 4                                      // 0000000033C8: 923C843C
	v_add_u32_e32 v10, s60, v10                                // 0000000033CC: 6814143C
	v_add_u32_e32 v11, s60, v11                                // 0000000033D0: 6816163C
	v_mov_b32_e32 v5, v10                                      // 0000000033D4: 7E0A030A
	s_mul_i32 s60, s2, 0xc0                                    // 0000000033D8: 923CFF02 000000C0
	s_mul_i32 s60, s60, 4                                      // 0000000033E0: 923C843C
	s_mul_i32 s61, s5, s74                                     // 0000000033E4: 923D4A05
	s_add_u32 s61, s61, s60                                    // 0000000033E8: 803D3C3D
	s_mul_i32 s62, s5, s76                                     // 0000000033EC: 923E4C05
	s_add_u32 s62, s62, s60                                    // 0000000033F0: 803E3C3E
	s_add_u32 s32, s61, s32                                    // 0000000033F4: 8020203D
	s_addc_u32 s33, 0, s33                                     // 0000000033F8: 82212180
	s_add_u32 s36, s62, s36                                    // 0000000033FC: 8024243E
	s_addc_u32 s37, 0, s37                                     // 000000003400: 82252580
	s_mul_i32 s60, s5, s75                                     // 000000003404: 923C4B05
	s_add_u32 s16, s60, s16                                    // 000000003408: 8010103C
	s_addc_u32 s17, 0, s17                                     // 00000000340C: 82111180
	s_mov_b32 s57, 0x100                                       // 000000003410: BEB900FF 00000100
	s_mov_b32 s58, 0x1000                                      // 000000003418: BEBA00FF 00001000
	s_mov_b32 s79, 0x400                                       // 000000003420: BECF00FF 00000400
	s_mov_b32 s59, 0x200                                       // 000000003428: BEBB00FF 00000200
	s_mov_b32 s90, s58                                         // 000000003430: BEDA003A
	s_mov_b32 s52, 0x7060302                                   // 000000003434: BEB400FF 07060302
	s_mov_b32 s53, 0x400                                       // 00000000343C: BEB500FF 00000400
	s_mov_b32 s54, 0x40100                                     // 000000003444: BEB600FF 00040100
	s_mov_b32 s55, 0x4020100                                   // 00000000344C: BEB700FF 04020100
	s_mov_b32 s6, 0x3fb8aa3b                                   // 000000003454: BE8600FF 3FB8AA3B
	s_mov_b32 s77, 0xbd92220c                                  // 00000000345C: BECD00FF BD92220C
	s_mov_b32 m0, s50                                          // 000000003464: BEFC0032
	v_mov_b32_e32 v1, 0xbfcc4231                               // 000000003468: 7E0202FF BFCC4231
	v_mov_b32_e32 v40, 0xffff0000                              // 000000003470: 7E5002FF FFFF0000
	v_mov_b32_e32 v41, 0x7fff0000                              // 000000003478: 7E5202FF 7FFF0000
	v_mov_b32_e32 v42, 0x7fff                                  // 000000003480: 7E5402FF 00007FFF
	s_waitcnt vmcnt(0) expcnt(0) lgkmcnt(0)                    // 000000003488: BF8C0000
	v_lshrrev_b32_e32 v44, 24, v6                              // 00000000348C: 20580C98
	v_mul_i32_i24_e32 v44, s66, v44                            // 000000003490: 0C585842
	v_and_b32_e32 v45, 0xffffff, v6                            // 000000003494: 265A0CFF 00FFFFFF
	v_add_u32_e32 v6, v44, v45                                 // 00000000349C: 680C5B2C
	v_lshrrev_b32_e32 v44, 24, v7                              // 0000000034A0: 20580E98
	v_mul_i32_i24_e32 v44, s66, v44                            // 0000000034A4: 0C585842
	v_and_b32_e32 v45, 0xffffff, v7                            // 0000000034A8: 265A0EFF 00FFFFFF
	v_add_u32_e32 v7, v44, v45                                 // 0000000034B0: 680E5B2C
	v_lshlrev_b32_e32 v6, 2, v6                                // 0000000034B4: 240C0C82
	v_lshlrev_b32_e32 v7, 2, v7                                // 0000000034B8: 240E0E82
	buffer_load_dword v13, v6, s[28:31], 0 offen               // 0000000034BC: E0501000 80070D06
	buffer_load_dword v14, v7, s[28:31], 0 offen               // 0000000034C4: E0501000 80070E07
	buffer_load_dword v15, v10, s[32:35], 0 offen              // 0000000034CC: E0501000 80080F0A
	buffer_load_dword v16, v11, s[32:35], 0 offen              // 0000000034D4: E0501000 8008100B
	s_mul_i32 s60, 4, s65                                      // 0000000034DC: 923C4184
	s_add_u32 s32, s60, s32                                    // 0000000034E0: 8020203C
	s_addc_u32 s33, 0, s33                                     // 0000000034E4: 82212180
	buffer_load_dword v43, v10, s[32:35], 0 offen              // 0000000034E8: E0501000 80082B0A
	buffer_load_dword v44, v11, s[32:35], 0 offen              // 0000000034F0: E0501000 80082C0B
	buffer_load_dword v16, v10, s[36:39], 0 offen              // 0000000034F8: E0501000 8009100A
	buffer_load_dword v17, v11, s[36:39], 0 offen              // 000000003500: E0501000 8009110B
	buffer_load_dword v17, v8, s[40:43], 0 offen               // 000000003508: E0501000 800A1108
	buffer_load_dword v18, v9, s[40:43], 0 offen               // 000000003510: E0501000 800A1209
	buffer_load_dword v24, s[20:23], 0 offen lds               // 000000003518: E0511000 80050018
	s_add_u32 m0, 0x100, s50                                   // 000000003520: 807C32FF 00000100
	buffer_load_dword v25, s[20:23], 0 offen lds               // 000000003528: E0511000 80050019
	s_add_u32 m0, 0x200, s50                                   // 000000003530: 807C32FF 00000200
	buffer_load_dword v26, s[20:23], 0 offen lds               // 000000003538: E0511000 8005001A
	s_add_u32 m0, 0x300, s50                                   // 000000003540: 807C32FF 00000300
	buffer_load_dword v27, s[20:23], 0 offen lds               // 000000003548: E0511000 8005001B
	s_add_u32 m0, 0x400, s50                                   // 000000003550: 807C32FF 00000400
	buffer_load_dword v28, s[20:23], 0 offen lds               // 000000003558: E0511000 8005001C
	s_add_u32 m0, 0x500, s50                                   // 000000003560: 807C32FF 00000500
	buffer_load_dword v29, s[20:23], 0 offen lds               // 000000003568: E0511000 8005001D
	s_add_u32 m0, 0x600, s50                                   // 000000003570: 807C32FF 00000600
	buffer_load_dword v30, s[20:23], 0 offen lds               // 000000003578: E0511000 8005001E
	s_add_u32 m0, 0x700, s50                                   // 000000003580: 807C32FF 00000700
	buffer_load_dword v31, s[20:23], 0 offen lds               // 000000003588: E0511000 8005001F
	s_add_u32 m0, 0, s51                                       // 000000003590: 807C3380
	s_add_u32 s20, s57, s20                                    // 000000003594: 80141439
	s_addc_u32 s21, 0, s21                                     // 000000003598: 82151580
	buffer_load_dwordx4 a[0:3], v32, s[24:27], 0 offen         // 00000000359C: E05C1000 80860020
	buffer_load_dwordx4 a[4:7], v32, s[24:27], 0 offen offset:1024// 0000000035A4: E05C1400 80860420
	buffer_load_dwordx4 a[8:11], v32, s[24:27], 0 offen offset:2048// 0000000035AC: E05C1800 80860820
	buffer_load_dwordx4 a[12:15], v32, s[24:27], 0 offen offset:3072// 0000000035B4: E05C1C00 80860C20
	buffer_load_dwordx4 a[16:19], v33, s[24:27], 0 offen       // 0000000035BC: E05C1000 80861021
	buffer_load_dwordx4 a[20:23], v33, s[24:27], 0 offen offset:1024// 0000000035C4: E05C1400 80861421
	buffer_load_dwordx4 a[24:27], v33, s[24:27], 0 offen offset:2048// 0000000035CC: E05C1800 80861821
	buffer_load_dwordx4 a[28:31], v33, s[24:27], 0 offen offset:3072// 0000000035D4: E05C1C00 80861C21
	buffer_load_dwordx4 a[32:35], v34, s[24:27], 0 offen       // 0000000035DC: E05C1000 80862022
	buffer_load_dwordx4 a[36:39], v34, s[24:27], 0 offen offset:1024// 0000000035E4: E05C1400 80862422
	buffer_load_dwordx4 a[40:43], v34, s[24:27], 0 offen offset:2048// 0000000035EC: E05C1800 80862822
	buffer_load_dwordx4 a[44:47], v34, s[24:27], 0 offen offset:3072// 0000000035F4: E05C1C00 80862C22
	s_add_u32 s24, s58, s24                                    // 0000000035FC: 8018183A
	s_addc_u32 s25, 0, s25                                     // 000000003600: 82191980
	v_mov_b32_e32 v128, 0                                      // 000000003604: 7F000280
	v_mov_b32_e32 v64, 0                                       // 000000003608: 7E800280
	v_mov_b32_e32 v129, 0                                      // 00000000360C: 7F020280
	v_mov_b32_e32 v65, 0                                       // 000000003610: 7E820280
	v_mov_b32_e32 v130, 0                                      // 000000003614: 7F040280
	v_mov_b32_e32 v66, 0                                       // 000000003618: 7E840280
	v_mov_b32_e32 v131, 0                                      // 00000000361C: 7F060280
	v_mov_b32_e32 v67, 0                                       // 000000003620: 7E860280
	v_mov_b32_e32 v132, 0                                      // 000000003624: 7F080280
	v_mov_b32_e32 v68, 0                                       // 000000003628: 7E880280
	v_mov_b32_e32 v133, 0                                      // 00000000362C: 7F0A0280
	v_mov_b32_e32 v69, 0                                       // 000000003630: 7E8A0280
	v_mov_b32_e32 v134, 0                                      // 000000003634: 7F0C0280
	v_mov_b32_e32 v70, 0                                       // 000000003638: 7E8C0280
	v_mov_b32_e32 v135, 0                                      // 00000000363C: 7F0E0280
	v_mov_b32_e32 v71, 0                                       // 000000003640: 7E8E0280
	v_mov_b32_e32 v136, 0                                      // 000000003644: 7F100280
	v_mov_b32_e32 v72, 0                                       // 000000003648: 7E900280
	v_mov_b32_e32 v137, 0                                      // 00000000364C: 7F120280
	v_mov_b32_e32 v73, 0                                       // 000000003650: 7E920280
	v_mov_b32_e32 v138, 0                                      // 000000003654: 7F140280
	v_mov_b32_e32 v74, 0                                       // 000000003658: 7E940280
	v_mov_b32_e32 v139, 0                                      // 00000000365C: 7F160280
	v_mov_b32_e32 v75, 0                                       // 000000003660: 7E960280
	v_mov_b32_e32 v140, 0                                      // 000000003664: 7F180280
	v_mov_b32_e32 v76, 0                                       // 000000003668: 7E980280
	v_mov_b32_e32 v141, 0                                      // 00000000366C: 7F1A0280
	v_mov_b32_e32 v77, 0                                       // 000000003670: 7E9A0280
	v_mov_b32_e32 v142, 0                                      // 000000003674: 7F1C0280
	v_mov_b32_e32 v78, 0                                       // 000000003678: 7E9C0280
	v_mov_b32_e32 v143, 0                                      // 00000000367C: 7F1E0280
	v_mov_b32_e32 v79, 0                                       // 000000003680: 7E9E0280
	v_mov_b32_e32 v144, 0                                      // 000000003684: 7F200280
	v_mov_b32_e32 v80, 0                                       // 000000003688: 7EA00280
	v_mov_b32_e32 v145, 0                                      // 00000000368C: 7F220280
	v_mov_b32_e32 v81, 0                                       // 000000003690: 7EA20280
	v_mov_b32_e32 v146, 0                                      // 000000003694: 7F240280
	v_mov_b32_e32 v82, 0                                       // 000000003698: 7EA40280
	v_mov_b32_e32 v147, 0                                      // 00000000369C: 7F260280
	v_mov_b32_e32 v83, 0                                       // 0000000036A0: 7EA60280
	v_mov_b32_e32 v148, 0                                      // 0000000036A4: 7F280280
	v_mov_b32_e32 v84, 0                                       // 0000000036A8: 7EA80280
	v_mov_b32_e32 v149, 0                                      // 0000000036AC: 7F2A0280
	v_mov_b32_e32 v85, 0                                       // 0000000036B0: 7EAA0280
	v_mov_b32_e32 v150, 0                                      // 0000000036B4: 7F2C0280
	v_mov_b32_e32 v86, 0                                       // 0000000036B8: 7EAC0280
	v_mov_b32_e32 v151, 0                                      // 0000000036BC: 7F2E0280
	v_mov_b32_e32 v87, 0                                       // 0000000036C0: 7EAE0280
	v_lshrrev_b32_e32 v44, 4, v0                               // 0000000036C4: 20580084
	v_mul_i32_i24_e32 v3, 34, v44                              // 0000000036C8: 0C0658A2
	v_and_b32_e32 v44, 15, v0                                  // 0000000036CC: 2658008F
	v_mul_i32_i24_e32 v45, 2, v44                              // 0000000036D0: 0C5A5882
	v_add_u32_e32 v3, v45, v3                                  // 0000000036D4: 6806072D
	s_mul_i32 s60, s7, 0x88                                    // 0000000036D8: 923CFF07 00000088
	v_add_u32_e32 v3, s60, v3                                  // 0000000036E0: 6806063C
	v_lshlrev_b32_e32 v3, 2, v3                                // 0000000036E4: 24060682
	v_lshrrev_b32_e32 v44, 1, v0                               // 0000000036E8: 20580081
	v_mul_i32_i24_e32 v4, 34, v44                              // 0000000036EC: 0C0858A2
	v_and_b32_e32 v45, 1, v0                                   // 0000000036F0: 265A0081
	v_add_u32_e32 v4, v45, v4                                  // 0000000036F4: 6808092D
	s_mul_i32 s60, s7, 2                                       // 0000000036F8: 923C8207
	v_add_u32_e32 v4, s60, v4                                  // 0000000036FC: 6808083C
	v_lshlrev_b32_e32 v4, 2, v4                                // 000000003700: 24080882
	s_waitcnt vmcnt(12)                                        // 000000003704: BF8C0F7C
	s_barrier                                                  // 000000003708: BF8A0000
	ds_read_b128 v[152:155], v2                                // 00000000370C: D9FE0000 98000002
	ds_read_b128 v[156:159], v2 offset:64                      // 000000003714: D9FE0040 9C000002
	ds_read_b128 v[160:163], v2 offset:128                     // 00000000371C: D9FE0080 A0000002
	ds_read_b128 v[164:167], v2 offset:192                     // 000000003724: D9FE00C0 A4000002
	ds_read_b128 v[168:171], v2 offset:1024                    // 00000000372C: D9FE0400 A8000002
	ds_read_b128 v[172:175], v2 offset:1088                    // 000000003734: D9FE0440 AC000002
	ds_read_b128 v[176:179], v2 offset:1152                    // 00000000373C: D9FE0480 B0000002
	ds_read_b128 v[180:183], v2 offset:1216                    // 000000003744: D9FE04C0 B4000002
	s_cmp_lt_i32 s7, 2                                         // 00000000374C: BF048207
	s_cbranch_scc0 label_0D35                                  // 000000003750: BF840AE0

0000000000003754 <label_0255>:
	s_waitcnt vmcnt(4) lgkmcnt(0)                              // 000000003754: BF8C0074
	s_barrier                                                  // 000000003758: BF8A0000
	v_mfma_i32_16x16x32_i8 v[128:131], a[0:1], v[152:153], v[128:131]// 00000000375C: D3D70080 0E033100
	v_mfma_i32_16x16x32_i8 v[128:131], a[2:3], v[154:155], v[128:131]// 000000003764: D3D70080 0E033502
	buffer_load_dwordx4 a[48:51], v32, s[92:95], 0 offen       // 00000000376C: E05C1000 80973020
	v_mfma_i32_16x16x32_i8 v[128:131], a[4:5], v[156:157], v[128:131]// 000000003774: D3D70080 0E033904
	v_mfma_i32_16x16x32_i8 v[128:131], a[6:7], v[158:159], v[128:131]// 00000000377C: D3D70080 0E033D06
	buffer_load_dword v24, s[20:23], 0 offen lds               // 000000003784: E0511000 80050018
	s_add_u32 m0, 0x100, s51                                   // 00000000378C: 807C33FF 00000100
	v_mfma_i32_16x16x32_i8 v[128:131], a[8:9], v[160:161], v[128:131]// 000000003794: D3D70080 0E034108
	v_mfma_i32_16x16x32_i8 v[128:131], a[10:11], v[162:163], v[128:131]// 00000000379C: D3D70080 0E03450A
	buffer_load_dwordx4 a[52:55], v32, s[92:95], 0 offen offset:1024// 0000000037A4: E05C1400 80973420
	v_mfma_i32_16x16x32_i8 v[128:131], a[12:13], v[164:165], v[128:131]// 0000000037AC: D3D70080 0E03490C
	v_mfma_i32_16x16x32_i8 v[128:131], a[14:15], v[166:167], v[128:131]// 0000000037B4: D3D70080 0E034D0E
	buffer_load_dword v25, s[20:23], 0 offen lds               // 0000000037BC: E0511000 80050019
	s_add_u32 m0, 0x200, s51                                   // 0000000037C4: 807C33FF 00000200
	v_mfma_i32_16x16x32_i8 v[132:135], a[0:1], v[168:169], v[132:135]// 0000000037CC: D3D70084 0E135100
	v_mfma_i32_16x16x32_i8 v[132:135], a[2:3], v[170:171], v[132:135]// 0000000037D4: D3D70084 0E135502
	buffer_load_dwordx4 a[56:59], v32, s[92:95], 0 offen offset:2048// 0000000037DC: E05C1800 80973820
	v_mfma_i32_16x16x32_i8 v[132:135], a[4:5], v[172:173], v[132:135]// 0000000037E4: D3D70084 0E135904
	v_mfma_i32_16x16x32_i8 v[132:135], a[6:7], v[174:175], v[132:135]// 0000000037EC: D3D70084 0E135D06
	buffer_load_dword v26, s[20:23], 0 offen lds               // 0000000037F4: E0511000 8005001A
	s_add_u32 m0, 0x300, s51                                   // 0000000037FC: 807C33FF 00000300
	v_mfma_i32_16x16x32_i8 v[132:135], a[8:9], v[176:177], v[132:135]// 000000003804: D3D70084 0E136108
	v_mfma_i32_16x16x32_i8 v[132:135], a[10:11], v[178:179], v[132:135]// 00000000380C: D3D70084 0E13650A
	buffer_load_dwordx4 a[60:63], v32, s[92:95], 0 offen offset:3072// 000000003814: E05C1C00 80973C20
	v_mfma_i32_16x16x32_i8 v[132:135], a[12:13], v[180:181], v[132:135]// 00000000381C: D3D70084 0E13690C
	v_mfma_i32_16x16x32_i8 v[132:135], a[14:15], v[182:183], v[132:135]// 000000003824: D3D70084 0E136D0E
	buffer_load_dword v27, s[20:23], 0 offen lds               // 00000000382C: E0511000 8005001B
	s_add_u32 m0, 0x400, s51                                   // 000000003834: 807C33FF 00000400
	v_mfma_i32_16x16x32_i8 v[136:139], a[16:17], v[152:153], v[136:139]// 00000000383C: D3D70088 0E233110
	v_mfma_i32_16x16x32_i8 v[136:139], a[18:19], v[154:155], v[136:139]// 000000003844: D3D70088 0E233512
	buffer_load_dwordx4 a[64:67], v33, s[92:95], 0 offen       // 00000000384C: E05C1000 80974021
	v_mfma_i32_16x16x32_i8 v[136:139], a[20:21], v[156:157], v[136:139]// 000000003854: D3D70088 0E233914
	v_mfma_i32_16x16x32_i8 v[136:139], a[22:23], v[158:159], v[136:139]// 00000000385C: D3D70088 0E233D16
	buffer_load_dword v28, s[20:23], 0 offen lds               // 000000003864: E0511000 8005001C
	s_add_u32 m0, 0x500, s51                                   // 00000000386C: 807C33FF 00000500
	v_mfma_i32_16x16x32_i8 v[136:139], a[24:25], v[160:161], v[136:139]// 000000003874: D3D70088 0E234118
	v_mfma_i32_16x16x32_i8 v[136:139], a[26:27], v[162:163], v[136:139]// 00000000387C: D3D70088 0E23451A
	buffer_load_dwordx4 a[68:71], v33, s[92:95], 0 offen offset:1024// 000000003884: E05C1400 80974421
	v_mfma_i32_16x16x32_i8 v[136:139], a[28:29], v[164:165], v[136:139]// 00000000388C: D3D70088 0E23491C
	v_mfma_i32_16x16x32_i8 v[136:139], a[30:31], v[166:167], v[136:139]// 000000003894: D3D70088 0E234D1E
	buffer_load_dword v29, s[20:23], 0 offen lds               // 00000000389C: E0511000 8005001D
	s_add_u32 m0, 0x600, s51                                   // 0000000038A4: 807C33FF 00000600
	v_mfma_i32_16x16x32_i8 v[140:143], a[16:17], v[168:169], v[140:143]// 0000000038AC: D3D7008C 0E335110
	v_mfma_i32_16x16x32_i8 v[140:143], a[18:19], v[170:171], v[140:143]// 0000000038B4: D3D7008C 0E335512
	buffer_load_dwordx4 a[72:75], v33, s[92:95], 0 offen offset:2048// 0000000038BC: E05C1800 80974821
	v_mfma_i32_16x16x32_i8 v[140:143], a[20:21], v[172:173], v[140:143]// 0000000038C4: D3D7008C 0E335914
	v_mfma_i32_16x16x32_i8 v[140:143], a[22:23], v[174:175], v[140:143]// 0000000038CC: D3D7008C 0E335D16
	buffer_load_dword v30, s[20:23], 0 offen lds               // 0000000038D4: E0511000 8005001E
	s_add_u32 m0, 0x700, s51                                   // 0000000038DC: 807C33FF 00000700
	v_mfma_i32_16x16x32_i8 v[140:143], a[24:25], v[176:177], v[140:143]// 0000000038E4: D3D7008C 0E336118
	v_mfma_i32_16x16x32_i8 v[140:143], a[26:27], v[178:179], v[140:143]// 0000000038EC: D3D7008C 0E33651A
	buffer_load_dwordx4 a[76:79], v33, s[92:95], 0 offen offset:3072// 0000000038F4: E05C1C00 80974C21
	v_mfma_i32_16x16x32_i8 v[140:143], a[28:29], v[180:181], v[140:143]// 0000000038FC: D3D7008C 0E33691C
	v_mfma_i32_16x16x32_i8 v[140:143], a[30:31], v[182:183], v[140:143]// 000000003904: D3D7008C 0E336D1E
	buffer_load_dword v31, s[20:23], 0 offen lds               // 00000000390C: E0511000 8005001F
	s_add_u32 m0, 0, s50                                       // 000000003914: 807C3280
	s_waitcnt vmcnt(16)                                        // 000000003918: BF8C4F70
	v_mfma_i32_16x16x32_i8 v[144:147], a[32:33], v[152:153], v[144:147]// 00000000391C: D3D70090 0E433120
	v_mfma_i32_16x16x32_i8 v[144:147], a[34:35], v[154:155], v[144:147]// 000000003924: D3D70090 0E433522
	buffer_load_dwordx4 a[80:83], v34, s[92:95], 0 offen       // 00000000392C: E05C1000 80975022
	v_mfma_i32_16x16x32_i8 v[144:147], a[36:37], v[156:157], v[144:147]// 000000003934: D3D70090 0E433924
	v_mfma_i32_16x16x32_i8 v[144:147], a[38:39], v[158:159], v[144:147]// 00000000393C: D3D70090 0E433D26
	v_mfma_i32_16x16x32_i8 v[144:147], a[40:41], v[160:161], v[144:147]// 000000003944: D3D70090 0E434128
	v_mfma_i32_16x16x32_i8 v[144:147], a[42:43], v[162:163], v[144:147]// 00000000394C: D3D70090 0E43452A
	buffer_load_dwordx4 a[84:87], v34, s[92:95], 0 offen offset:1024// 000000003954: E05C1400 80975422
	v_mfma_i32_16x16x32_i8 v[144:147], a[44:45], v[164:165], v[144:147]// 00000000395C: D3D70090 0E43492C
	v_mfma_i32_16x16x32_i8 v[144:147], a[46:47], v[166:167], v[144:147]// 000000003964: D3D70090 0E434D2E
	v_mfma_i32_16x16x32_i8 v[148:151], a[32:33], v[168:169], v[148:151]// 00000000396C: D3D70094 0E535120
	v_mfma_i32_16x16x32_i8 v[148:151], a[34:35], v[170:171], v[148:151]// 000000003974: D3D70094 0E535522
	buffer_load_dwordx4 a[88:91], v34, s[92:95], 0 offen offset:2048// 00000000397C: E05C1800 80975822
	v_mfma_i32_16x16x32_i8 v[148:151], a[36:37], v[172:173], v[148:151]// 000000003984: D3D70094 0E535924
	v_mfma_i32_16x16x32_i8 v[148:151], a[38:39], v[174:175], v[148:151]// 00000000398C: D3D70094 0E535D26
	v_mfma_i32_16x16x32_i8 v[148:151], a[40:41], v[176:177], v[148:151]// 000000003994: D3D70094 0E536128
	v_mfma_i32_16x16x32_i8 v[148:151], a[42:43], v[178:179], v[148:151]// 00000000399C: D3D70094 0E53652A
	buffer_load_dwordx4 a[92:95], v34, s[92:95], 0 offen offset:3072// 0000000039A4: E05C1C00 80975C22
	v_mfma_i32_16x16x32_i8 v[148:151], a[44:45], v[180:181], v[148:151]// 0000000039AC: D3D70094 0E53692C
	v_mfma_i32_16x16x32_i8 v[148:151], a[46:47], v[182:183], v[148:151]// 0000000039B4: D3D70094 0E536D2E
	s_waitcnt vmcnt(4)                                         // 0000000039BC: BF8C0F74
	s_barrier                                                  // 0000000039C0: BF8A0000
	v_mfma_i32_16x16x32_i8 v[64:67], a[48:49], v[152:153], v[64:67]// 0000000039C4: D3D70040 0D033130
	v_mfma_i32_16x16x32_i8 v[64:67], a[50:51], v[154:155], v[64:67]// 0000000039CC: D3D70040 0D033532
	buffer_load_dwordx4 a[0:3], v32, s[24:27], 0 offen         // 0000000039D4: E05C1000 80860020
	v_mfma_i32_16x16x32_i8 v[64:67], a[52:53], v[156:157], v[64:67]// 0000000039DC: D3D70040 0D033934
	v_mfma_i32_16x16x32_i8 v[64:67], a[54:55], v[158:159], v[64:67]// 0000000039E4: D3D70040 0D033D36
	v_mfma_i32_16x16x32_i8 v[64:67], a[56:57], v[160:161], v[64:67]// 0000000039EC: D3D70040 0D034138
	v_mfma_i32_16x16x32_i8 v[64:67], a[58:59], v[162:163], v[64:67]// 0000000039F4: D3D70040 0D03453A
	buffer_load_dwordx4 a[4:7], v32, s[24:27], 0 offen offset:1024// 0000000039FC: E05C1400 80860420
	v_mfma_i32_16x16x32_i8 v[64:67], a[60:61], v[164:165], v[64:67]// 000000003A04: D3D70040 0D03493C
	v_mfma_i32_16x16x32_i8 v[64:67], a[62:63], v[166:167], v[64:67]// 000000003A0C: D3D70040 0D034D3E
	v_mfma_i32_16x16x32_i8 v[68:71], a[48:49], v[168:169], v[68:71]// 000000003A14: D3D70044 0D135130
	v_mfma_i32_16x16x32_i8 v[68:71], a[50:51], v[170:171], v[68:71]// 000000003A1C: D3D70044 0D135532
	buffer_load_dwordx4 a[8:11], v32, s[24:27], 0 offen offset:2048// 000000003A24: E05C1800 80860820
	v_mfma_i32_16x16x32_i8 v[68:71], a[52:53], v[172:173], v[68:71]// 000000003A2C: D3D70044 0D135934
	v_mfma_i32_16x16x32_i8 v[68:71], a[54:55], v[174:175], v[68:71]// 000000003A34: D3D70044 0D135D36
	v_mfma_i32_16x16x32_i8 v[68:71], a[56:57], v[176:177], v[68:71]// 000000003A3C: D3D70044 0D136138
	v_mfma_i32_16x16x32_i8 v[68:71], a[58:59], v[178:179], v[68:71]// 000000003A44: D3D70044 0D13653A
	buffer_load_dwordx4 a[12:15], v32, s[24:27], 0 offen offset:3072// 000000003A4C: E05C1C00 80860C20
	v_mfma_i32_16x16x32_i8 v[68:71], a[60:61], v[180:181], v[68:71]// 000000003A54: D3D70044 0D13693C
	v_mfma_i32_16x16x32_i8 v[68:71], a[62:63], v[182:183], v[68:71]// 000000003A5C: D3D70044 0D136D3E
	v_mfma_i32_16x16x32_i8 v[72:75], a[64:65], v[152:153], v[72:75]// 000000003A64: D3D70048 0D233140
	v_mfma_i32_16x16x32_i8 v[72:75], a[66:67], v[154:155], v[72:75]// 000000003A6C: D3D70048 0D233542
	buffer_load_dwordx4 a[16:19], v33, s[24:27], 0 offen       // 000000003A74: E05C1000 80861021
	v_mfma_i32_16x16x32_i8 v[72:75], a[68:69], v[156:157], v[72:75]// 000000003A7C: D3D70048 0D233944
	v_mfma_i32_16x16x32_i8 v[72:75], a[70:71], v[158:159], v[72:75]// 000000003A84: D3D70048 0D233D46
	ds_read_b128 v[184:187], v2 offset:8320                    // 000000003A8C: D9FE2080 B8000002
	v_mfma_i32_16x16x32_i8 v[72:75], a[72:73], v[160:161], v[72:75]// 000000003A94: D3D70048 0D234148
	v_mfma_i32_16x16x32_i8 v[72:75], a[74:75], v[162:163], v[72:75]// 000000003A9C: D3D70048 0D23454A
	buffer_load_dwordx4 a[20:23], v33, s[24:27], 0 offen offset:1024// 000000003AA4: E05C1400 80861421
	v_mfma_i32_16x16x32_i8 v[72:75], a[76:77], v[164:165], v[72:75]// 000000003AAC: D3D70048 0D23494C
	v_mfma_i32_16x16x32_i8 v[72:75], a[78:79], v[166:167], v[72:75]// 000000003AB4: D3D70048 0D234D4E
	ds_read_b128 v[188:191], v2 offset:8384                    // 000000003ABC: D9FE20C0 BC000002
	v_mfma_i32_16x16x32_i8 v[76:79], a[64:65], v[168:169], v[76:79]// 000000003AC4: D3D7004C 0D335140
	v_mfma_i32_16x16x32_i8 v[76:79], a[66:67], v[170:171], v[76:79]// 000000003ACC: D3D7004C 0D335542
	buffer_load_dwordx4 a[24:27], v33, s[24:27], 0 offen offset:2048// 000000003AD4: E05C1800 80861821
	v_mfma_i32_16x16x32_i8 v[76:79], a[68:69], v[172:173], v[76:79]// 000000003ADC: D3D7004C 0D335944
	v_mfma_i32_16x16x32_i8 v[76:79], a[70:71], v[174:175], v[76:79]// 000000003AE4: D3D7004C 0D335D46
	ds_read_b128 v[192:195], v2 offset:8448                    // 000000003AEC: D9FE2100 C0000002
	v_mfma_i32_16x16x32_i8 v[76:79], a[72:73], v[176:177], v[76:79]// 000000003AF4: D3D7004C 0D336148
	v_mfma_i32_16x16x32_i8 v[76:79], a[74:75], v[178:179], v[76:79]// 000000003AFC: D3D7004C 0D33654A
	buffer_load_dwordx4 a[28:31], v33, s[24:27], 0 offen offset:3072// 000000003B04: E05C1C00 80861C21
	v_mfma_i32_16x16x32_i8 v[76:79], a[76:77], v[180:181], v[76:79]// 000000003B0C: D3D7004C 0D33694C
	v_mfma_i32_16x16x32_i8 v[76:79], a[78:79], v[182:183], v[76:79]// 000000003B14: D3D7004C 0D336D4E
	ds_read_b128 v[196:199], v2 offset:8512                    // 000000003B1C: D9FE2140 C4000002
	s_waitcnt vmcnt(8)                                         // 000000003B24: BF8C0F78
	v_mfma_i32_16x16x32_i8 v[80:83], a[80:81], v[152:153], v[80:83]// 000000003B28: D3D70050 0D433150
	v_mfma_i32_16x16x32_i8 v[80:83], a[82:83], v[154:155], v[80:83]// 000000003B30: D3D70050 0D433552
	buffer_load_dwordx4 a[32:35], v34, s[24:27], 0 offen       // 000000003B38: E05C1000 80862022
	v_mfma_i32_16x16x32_i8 v[80:83], a[84:85], v[156:157], v[80:83]// 000000003B40: D3D70050 0D433954
	v_mfma_i32_16x16x32_i8 v[80:83], a[86:87], v[158:159], v[80:83]// 000000003B48: D3D70050 0D433D56
	ds_read_b128 v[200:203], v2 offset:9344                    // 000000003B50: D9FE2480 C8000002
	v_mfma_i32_16x16x32_i8 v[80:83], a[88:89], v[160:161], v[80:83]// 000000003B58: D3D70050 0D434158
	v_mfma_i32_16x16x32_i8 v[80:83], a[90:91], v[162:163], v[80:83]// 000000003B60: D3D70050 0D43455A
	buffer_load_dwordx4 a[36:39], v34, s[24:27], 0 offen offset:1024// 000000003B68: E05C1400 80862422
	v_mfma_i32_16x16x32_i8 v[80:83], a[92:93], v[164:165], v[80:83]// 000000003B70: D3D70050 0D43495C
	v_mfma_i32_16x16x32_i8 v[80:83], a[94:95], v[166:167], v[80:83]// 000000003B78: D3D70050 0D434D5E
	ds_read_b128 v[204:207], v2 offset:9408                    // 000000003B80: D9FE24C0 CC000002
	v_mfma_i32_16x16x32_i8 v[84:87], a[80:81], v[168:169], v[84:87]// 000000003B88: D3D70054 0D535150
	v_mfma_i32_16x16x32_i8 v[84:87], a[82:83], v[170:171], v[84:87]// 000000003B90: D3D70054 0D535552
	buffer_load_dwordx4 a[40:43], v34, s[24:27], 0 offen offset:2048// 000000003B98: E05C1800 80862822
	v_mfma_i32_16x16x32_i8 v[84:87], a[84:85], v[172:173], v[84:87]// 000000003BA0: D3D70054 0D535954
	v_mfma_i32_16x16x32_i8 v[84:87], a[86:87], v[174:175], v[84:87]// 000000003BA8: D3D70054 0D535D56
	ds_read_b128 v[208:211], v2 offset:9472                    // 000000003BB0: D9FE2500 D0000002
	v_mfma_i32_16x16x32_i8 v[84:87], a[88:89], v[176:177], v[84:87]// 000000003BB8: D3D70054 0D536158
	v_mfma_i32_16x16x32_i8 v[84:87], a[90:91], v[178:179], v[84:87]// 000000003BC0: D3D70054 0D53655A
	buffer_load_dwordx4 a[44:47], v34, s[24:27], 0 offen offset:3072// 000000003BC8: E05C1C00 80862C22
	v_mfma_i32_16x16x32_i8 v[84:87], a[92:93], v[180:181], v[84:87]// 000000003BD0: D3D70054 0D53695C
	v_mfma_i32_16x16x32_i8 v[84:87], a[94:95], v[182:183], v[84:87]// 000000003BD8: D3D70054 0D536D5E
	ds_read_b128 v[212:215], v2 offset:9536                    // 000000003BE0: D9FE2540 D4000002
	s_add_u32 s60, 0x200, s80                                  // 000000003BE8: 803C50FF 00000200
	s_cmp_lt_u32 s60, s81                                      // 000000003BF0: BF0A513C
	s_cselect_b32 s57, s57, 0                                  // 000000003BF4: 85398039
	s_add_u32 s60, 0x200, s80                                  // 000000003BF8: 803C50FF 00000200
	s_cmp_lt_u32 s60, s81                                      // 000000003C00: BF0A513C
	s_cselect_b32 s58, s58, 0                                  // 000000003C04: 853A803A
	s_add_u32 s20, s57, s20                                    // 000000003C08: 80141439
	s_addc_u32 s21, 0, s21                                     // 000000003C0C: 82151580
	s_add_u32 s24, s58, s24                                    // 000000003C10: 8018183A
	s_addc_u32 s25, 0, s25                                     // 000000003C14: 82191980
	s_add_u32 s92, s90, s92                                    // 000000003C18: 805C5C5A
	s_addc_u32 s93, 0, s93                                     // 000000003C1C: 825D5D80
	s_addk_i32 s80, 0x100                                      // 000000003C20: B7500100
	s_cmp_lt_i32 s80, s81                                      // 000000003C24: BF045150
	s_cbranch_scc0 label_04C2                                  // 000000003C28: BF840137
	s_waitcnt vmcnt(4) lgkmcnt(0)                              // 000000003C2C: BF8C0074
	s_barrier                                                  // 000000003C30: BF8A0000
	v_mfma_i32_16x16x32_i8 v[128:131], a[0:1], v[184:185], v[128:131]// 000000003C34: D3D70080 0E037100
	v_mfma_i32_16x16x32_i8 v[128:131], a[2:3], v[186:187], v[128:131]// 000000003C3C: D3D70080 0E037502
	buffer_load_dwordx4 a[48:51], v32, s[92:95], 0 offen       // 000000003C44: E05C1000 80973020
	v_mfma_i32_16x16x32_i8 v[128:131], a[4:5], v[188:189], v[128:131]// 000000003C4C: D3D70080 0E037904
	v_mfma_i32_16x16x32_i8 v[128:131], a[6:7], v[190:191], v[128:131]// 000000003C54: D3D70080 0E037D06
	buffer_load_dword v24, s[20:23], 0 offen lds               // 000000003C5C: E0511000 80050018
	s_add_u32 m0, 0x100, s50                                   // 000000003C64: 807C32FF 00000100
	v_mfma_i32_16x16x32_i8 v[128:131], a[8:9], v[192:193], v[128:131]// 000000003C6C: D3D70080 0E038108
	v_mfma_i32_16x16x32_i8 v[128:131], a[10:11], v[194:195], v[128:131]// 000000003C74: D3D70080 0E03850A
	buffer_load_dwordx4 a[52:55], v32, s[92:95], 0 offen offset:1024// 000000003C7C: E05C1400 80973420
	v_mfma_i32_16x16x32_i8 v[128:131], a[12:13], v[196:197], v[128:131]// 000000003C84: D3D70080 0E03890C
	v_mfma_i32_16x16x32_i8 v[128:131], a[14:15], v[198:199], v[128:131]// 000000003C8C: D3D70080 0E038D0E
	buffer_load_dword v25, s[20:23], 0 offen lds               // 000000003C94: E0511000 80050019
	s_add_u32 m0, 0x200, s50                                   // 000000003C9C: 807C32FF 00000200
	v_mfma_i32_16x16x32_i8 v[132:135], a[0:1], v[200:201], v[132:135]// 000000003CA4: D3D70084 0E139100
	v_mfma_i32_16x16x32_i8 v[132:135], a[2:3], v[202:203], v[132:135]// 000000003CAC: D3D70084 0E139502
	buffer_load_dwordx4 a[56:59], v32, s[92:95], 0 offen offset:2048// 000000003CB4: E05C1800 80973820
	v_mfma_i32_16x16x32_i8 v[132:135], a[4:5], v[204:205], v[132:135]// 000000003CBC: D3D70084 0E139904
	v_mfma_i32_16x16x32_i8 v[132:135], a[6:7], v[206:207], v[132:135]// 000000003CC4: D3D70084 0E139D06
	buffer_load_dword v26, s[20:23], 0 offen lds               // 000000003CCC: E0511000 8005001A
	s_add_u32 m0, 0x300, s50                                   // 000000003CD4: 807C32FF 00000300
	v_mfma_i32_16x16x32_i8 v[132:135], a[8:9], v[208:209], v[132:135]// 000000003CDC: D3D70084 0E13A108
	v_mfma_i32_16x16x32_i8 v[132:135], a[10:11], v[210:211], v[132:135]// 000000003CE4: D3D70084 0E13A50A
	buffer_load_dwordx4 a[60:63], v32, s[92:95], 0 offen offset:3072// 000000003CEC: E05C1C00 80973C20
	v_mfma_i32_16x16x32_i8 v[132:135], a[12:13], v[212:213], v[132:135]// 000000003CF4: D3D70084 0E13A90C
	v_mfma_i32_16x16x32_i8 v[132:135], a[14:15], v[214:215], v[132:135]// 000000003CFC: D3D70084 0E13AD0E
	buffer_load_dword v27, s[20:23], 0 offen lds               // 000000003D04: E0511000 8005001B
	s_add_u32 m0, 0x400, s50                                   // 000000003D0C: 807C32FF 00000400
	v_mfma_i32_16x16x32_i8 v[136:139], a[16:17], v[184:185], v[136:139]// 000000003D14: D3D70088 0E237110
	v_mfma_i32_16x16x32_i8 v[136:139], a[18:19], v[186:187], v[136:139]// 000000003D1C: D3D70088 0E237512
	buffer_load_dwordx4 a[64:67], v33, s[92:95], 0 offen       // 000000003D24: E05C1000 80974021
	v_mfma_i32_16x16x32_i8 v[136:139], a[20:21], v[188:189], v[136:139]// 000000003D2C: D3D70088 0E237914
	v_mfma_i32_16x16x32_i8 v[136:139], a[22:23], v[190:191], v[136:139]// 000000003D34: D3D70088 0E237D16
	buffer_load_dword v28, s[20:23], 0 offen lds               // 000000003D3C: E0511000 8005001C
	s_add_u32 m0, 0x500, s50                                   // 000000003D44: 807C32FF 00000500
	v_mfma_i32_16x16x32_i8 v[136:139], a[24:25], v[192:193], v[136:139]// 000000003D4C: D3D70088 0E238118
	v_mfma_i32_16x16x32_i8 v[136:139], a[26:27], v[194:195], v[136:139]// 000000003D54: D3D70088 0E23851A
	buffer_load_dwordx4 a[68:71], v33, s[92:95], 0 offen offset:1024// 000000003D5C: E05C1400 80974421
	v_mfma_i32_16x16x32_i8 v[136:139], a[28:29], v[196:197], v[136:139]// 000000003D64: D3D70088 0E23891C
	v_mfma_i32_16x16x32_i8 v[136:139], a[30:31], v[198:199], v[136:139]// 000000003D6C: D3D70088 0E238D1E
	buffer_load_dword v29, s[20:23], 0 offen lds               // 000000003D74: E0511000 8005001D
	s_add_u32 m0, 0x600, s50                                   // 000000003D7C: 807C32FF 00000600
	v_mfma_i32_16x16x32_i8 v[140:143], a[16:17], v[200:201], v[140:143]// 000000003D84: D3D7008C 0E339110
	v_mfma_i32_16x16x32_i8 v[140:143], a[18:19], v[202:203], v[140:143]// 000000003D8C: D3D7008C 0E339512
	buffer_load_dwordx4 a[72:75], v33, s[92:95], 0 offen offset:2048// 000000003D94: E05C1800 80974821
	v_mfma_i32_16x16x32_i8 v[140:143], a[20:21], v[204:205], v[140:143]// 000000003D9C: D3D7008C 0E339914
	v_mfma_i32_16x16x32_i8 v[140:143], a[22:23], v[206:207], v[140:143]// 000000003DA4: D3D7008C 0E339D16
	buffer_load_dword v30, s[20:23], 0 offen lds               // 000000003DAC: E0511000 8005001E
	s_add_u32 m0, 0x700, s50                                   // 000000003DB4: 807C32FF 00000700
	v_mfma_i32_16x16x32_i8 v[140:143], a[24:25], v[208:209], v[140:143]// 000000003DBC: D3D7008C 0E33A118
	v_mfma_i32_16x16x32_i8 v[140:143], a[26:27], v[210:211], v[140:143]// 000000003DC4: D3D7008C 0E33A51A
	buffer_load_dwordx4 a[76:79], v33, s[92:95], 0 offen offset:3072// 000000003DCC: E05C1C00 80974C21
	v_mfma_i32_16x16x32_i8 v[140:143], a[28:29], v[212:213], v[140:143]// 000000003DD4: D3D7008C 0E33A91C
	v_mfma_i32_16x16x32_i8 v[140:143], a[30:31], v[214:215], v[140:143]// 000000003DDC: D3D7008C 0E33AD1E
	buffer_load_dword v31, s[20:23], 0 offen lds               // 000000003DE4: E0511000 8005001F
	s_add_u32 m0, 0, s51                                       // 000000003DEC: 807C3380
	s_waitcnt vmcnt(16)                                        // 000000003DF0: BF8C4F70
	v_mfma_i32_16x16x32_i8 v[144:147], a[32:33], v[184:185], v[144:147]// 000000003DF4: D3D70090 0E437120
	v_mfma_i32_16x16x32_i8 v[144:147], a[34:35], v[186:187], v[144:147]// 000000003DFC: D3D70090 0E437522
	buffer_load_dwordx4 a[80:83], v34, s[92:95], 0 offen       // 000000003E04: E05C1000 80975022
	v_mfma_i32_16x16x32_i8 v[144:147], a[36:37], v[188:189], v[144:147]// 000000003E0C: D3D70090 0E437924
	v_mfma_i32_16x16x32_i8 v[144:147], a[38:39], v[190:191], v[144:147]// 000000003E14: D3D70090 0E437D26
	v_mfma_i32_16x16x32_i8 v[144:147], a[40:41], v[192:193], v[144:147]// 000000003E1C: D3D70090 0E438128
	v_mfma_i32_16x16x32_i8 v[144:147], a[42:43], v[194:195], v[144:147]// 000000003E24: D3D70090 0E43852A
	buffer_load_dwordx4 a[84:87], v34, s[92:95], 0 offen offset:1024// 000000003E2C: E05C1400 80975422
	v_mfma_i32_16x16x32_i8 v[144:147], a[44:45], v[196:197], v[144:147]// 000000003E34: D3D70090 0E43892C
	v_mfma_i32_16x16x32_i8 v[144:147], a[46:47], v[198:199], v[144:147]// 000000003E3C: D3D70090 0E438D2E
	v_mfma_i32_16x16x32_i8 v[148:151], a[32:33], v[200:201], v[148:151]// 000000003E44: D3D70094 0E539120
	v_mfma_i32_16x16x32_i8 v[148:151], a[34:35], v[202:203], v[148:151]// 000000003E4C: D3D70094 0E539522
	buffer_load_dwordx4 a[88:91], v34, s[92:95], 0 offen offset:2048// 000000003E54: E05C1800 80975822
	v_mfma_i32_16x16x32_i8 v[148:151], a[36:37], v[204:205], v[148:151]// 000000003E5C: D3D70094 0E539924
	v_mfma_i32_16x16x32_i8 v[148:151], a[38:39], v[206:207], v[148:151]// 000000003E64: D3D70094 0E539D26
	v_mfma_i32_16x16x32_i8 v[148:151], a[40:41], v[208:209], v[148:151]// 000000003E6C: D3D70094 0E53A128
	v_mfma_i32_16x16x32_i8 v[148:151], a[42:43], v[210:211], v[148:151]// 000000003E74: D3D70094 0E53A52A
	buffer_load_dwordx4 a[92:95], v34, s[92:95], 0 offen offset:3072// 000000003E7C: E05C1C00 80975C22
	v_mfma_i32_16x16x32_i8 v[148:151], a[44:45], v[212:213], v[148:151]// 000000003E84: D3D70094 0E53A92C
	v_mfma_i32_16x16x32_i8 v[148:151], a[46:47], v[214:215], v[148:151]// 000000003E8C: D3D70094 0E53AD2E
	s_waitcnt vmcnt(4)                                         // 000000003E94: BF8C0F74
	s_barrier                                                  // 000000003E98: BF8A0000
	v_mfma_i32_16x16x32_i8 v[64:67], a[48:49], v[184:185], v[64:67]// 000000003E9C: D3D70040 0D037130
	v_mfma_i32_16x16x32_i8 v[64:67], a[50:51], v[186:187], v[64:67]// 000000003EA4: D3D70040 0D037532
	buffer_load_dwordx4 a[0:3], v32, s[24:27], 0 offen         // 000000003EAC: E05C1000 80860020
	v_mfma_i32_16x16x32_i8 v[64:67], a[52:53], v[188:189], v[64:67]// 000000003EB4: D3D70040 0D037934
	v_mfma_i32_16x16x32_i8 v[64:67], a[54:55], v[190:191], v[64:67]// 000000003EBC: D3D70040 0D037D36
	v_mfma_i32_16x16x32_i8 v[64:67], a[56:57], v[192:193], v[64:67]// 000000003EC4: D3D70040 0D038138
	v_mfma_i32_16x16x32_i8 v[64:67], a[58:59], v[194:195], v[64:67]// 000000003ECC: D3D70040 0D03853A
	buffer_load_dwordx4 a[4:7], v32, s[24:27], 0 offen offset:1024// 000000003ED4: E05C1400 80860420
	v_mfma_i32_16x16x32_i8 v[64:67], a[60:61], v[196:197], v[64:67]// 000000003EDC: D3D70040 0D03893C
	v_mfma_i32_16x16x32_i8 v[64:67], a[62:63], v[198:199], v[64:67]// 000000003EE4: D3D70040 0D038D3E
	v_mfma_i32_16x16x32_i8 v[68:71], a[48:49], v[200:201], v[68:71]// 000000003EEC: D3D70044 0D139130
	v_mfma_i32_16x16x32_i8 v[68:71], a[50:51], v[202:203], v[68:71]// 000000003EF4: D3D70044 0D139532
	buffer_load_dwordx4 a[8:11], v32, s[24:27], 0 offen offset:2048// 000000003EFC: E05C1800 80860820
	v_mfma_i32_16x16x32_i8 v[68:71], a[52:53], v[204:205], v[68:71]// 000000003F04: D3D70044 0D139934
	v_mfma_i32_16x16x32_i8 v[68:71], a[54:55], v[206:207], v[68:71]// 000000003F0C: D3D70044 0D139D36
	v_mfma_i32_16x16x32_i8 v[68:71], a[56:57], v[208:209], v[68:71]// 000000003F14: D3D70044 0D13A138
	v_mfma_i32_16x16x32_i8 v[68:71], a[58:59], v[210:211], v[68:71]// 000000003F1C: D3D70044 0D13A53A
	buffer_load_dwordx4 a[12:15], v32, s[24:27], 0 offen offset:3072// 000000003F24: E05C1C00 80860C20
	v_mfma_i32_16x16x32_i8 v[68:71], a[60:61], v[212:213], v[68:71]// 000000003F2C: D3D70044 0D13A93C
	v_mfma_i32_16x16x32_i8 v[68:71], a[62:63], v[214:215], v[68:71]// 000000003F34: D3D70044 0D13AD3E
	v_mfma_i32_16x16x32_i8 v[72:75], a[64:65], v[184:185], v[72:75]// 000000003F3C: D3D70048 0D237140
	v_mfma_i32_16x16x32_i8 v[72:75], a[66:67], v[186:187], v[72:75]// 000000003F44: D3D70048 0D237542
	buffer_load_dwordx4 a[16:19], v33, s[24:27], 0 offen       // 000000003F4C: E05C1000 80861021
	v_mfma_i32_16x16x32_i8 v[72:75], a[68:69], v[188:189], v[72:75]// 000000003F54: D3D70048 0D237944
	v_mfma_i32_16x16x32_i8 v[72:75], a[70:71], v[190:191], v[72:75]// 000000003F5C: D3D70048 0D237D46
	ds_read_b128 v[152:155], v2                                // 000000003F64: D9FE0000 98000002
	v_mfma_i32_16x16x32_i8 v[72:75], a[72:73], v[192:193], v[72:75]// 000000003F6C: D3D70048 0D238148
	v_mfma_i32_16x16x32_i8 v[72:75], a[74:75], v[194:195], v[72:75]// 000000003F74: D3D70048 0D23854A
	buffer_load_dwordx4 a[20:23], v33, s[24:27], 0 offen offset:1024// 000000003F7C: E05C1400 80861421
	v_mfma_i32_16x16x32_i8 v[72:75], a[76:77], v[196:197], v[72:75]// 000000003F84: D3D70048 0D23894C
	v_mfma_i32_16x16x32_i8 v[72:75], a[78:79], v[198:199], v[72:75]// 000000003F8C: D3D70048 0D238D4E
	ds_read_b128 v[156:159], v2 offset:64                      // 000000003F94: D9FE0040 9C000002
	v_mfma_i32_16x16x32_i8 v[76:79], a[64:65], v[200:201], v[76:79]// 000000003F9C: D3D7004C 0D339140
	v_mfma_i32_16x16x32_i8 v[76:79], a[66:67], v[202:203], v[76:79]// 000000003FA4: D3D7004C 0D339542
	buffer_load_dwordx4 a[24:27], v33, s[24:27], 0 offen offset:2048// 000000003FAC: E05C1800 80861821
	v_mfma_i32_16x16x32_i8 v[76:79], a[68:69], v[204:205], v[76:79]// 000000003FB4: D3D7004C 0D339944
	v_mfma_i32_16x16x32_i8 v[76:79], a[70:71], v[206:207], v[76:79]// 000000003FBC: D3D7004C 0D339D46
	ds_read_b128 v[160:163], v2 offset:128                     // 000000003FC4: D9FE0080 A0000002
	v_mfma_i32_16x16x32_i8 v[76:79], a[72:73], v[208:209], v[76:79]// 000000003FCC: D3D7004C 0D33A148
	v_mfma_i32_16x16x32_i8 v[76:79], a[74:75], v[210:211], v[76:79]// 000000003FD4: D3D7004C 0D33A54A
	buffer_load_dwordx4 a[28:31], v33, s[24:27], 0 offen offset:3072// 000000003FDC: E05C1C00 80861C21
	v_mfma_i32_16x16x32_i8 v[76:79], a[76:77], v[212:213], v[76:79]// 000000003FE4: D3D7004C 0D33A94C
	v_mfma_i32_16x16x32_i8 v[76:79], a[78:79], v[214:215], v[76:79]// 000000003FEC: D3D7004C 0D33AD4E
	ds_read_b128 v[164:167], v2 offset:192                     // 000000003FF4: D9FE00C0 A4000002
	s_waitcnt vmcnt(8)                                         // 000000003FFC: BF8C0F78
	v_mfma_i32_16x16x32_i8 v[80:83], a[80:81], v[184:185], v[80:83]// 000000004000: D3D70050 0D437150
	v_mfma_i32_16x16x32_i8 v[80:83], a[82:83], v[186:187], v[80:83]// 000000004008: D3D70050 0D437552
	buffer_load_dwordx4 a[32:35], v34, s[24:27], 0 offen       // 000000004010: E05C1000 80862022
	v_mfma_i32_16x16x32_i8 v[80:83], a[84:85], v[188:189], v[80:83]// 000000004018: D3D70050 0D437954
	v_mfma_i32_16x16x32_i8 v[80:83], a[86:87], v[190:191], v[80:83]// 000000004020: D3D70050 0D437D56
	ds_read_b128 v[168:171], v2 offset:1024                    // 000000004028: D9FE0400 A8000002
	v_mfma_i32_16x16x32_i8 v[80:83], a[88:89], v[192:193], v[80:83]// 000000004030: D3D70050 0D438158
	v_mfma_i32_16x16x32_i8 v[80:83], a[90:91], v[194:195], v[80:83]// 000000004038: D3D70050 0D43855A
	buffer_load_dwordx4 a[36:39], v34, s[24:27], 0 offen offset:1024// 000000004040: E05C1400 80862422
	v_mfma_i32_16x16x32_i8 v[80:83], a[92:93], v[196:197], v[80:83]// 000000004048: D3D70050 0D43895C
	v_mfma_i32_16x16x32_i8 v[80:83], a[94:95], v[198:199], v[80:83]// 000000004050: D3D70050 0D438D5E
	ds_read_b128 v[172:175], v2 offset:1088                    // 000000004058: D9FE0440 AC000002
	v_mfma_i32_16x16x32_i8 v[84:87], a[80:81], v[200:201], v[84:87]// 000000004060: D3D70054 0D539150
	v_mfma_i32_16x16x32_i8 v[84:87], a[82:83], v[202:203], v[84:87]// 000000004068: D3D70054 0D539552
	buffer_load_dwordx4 a[40:43], v34, s[24:27], 0 offen offset:2048// 000000004070: E05C1800 80862822
	v_mfma_i32_16x16x32_i8 v[84:87], a[84:85], v[204:205], v[84:87]// 000000004078: D3D70054 0D539954
	v_mfma_i32_16x16x32_i8 v[84:87], a[86:87], v[206:207], v[84:87]// 000000004080: D3D70054 0D539D56
	ds_read_b128 v[176:179], v2 offset:1152                    // 000000004088: D9FE0480 B0000002
	v_mfma_i32_16x16x32_i8 v[84:87], a[88:89], v[208:209], v[84:87]// 000000004090: D3D70054 0D53A158
	v_mfma_i32_16x16x32_i8 v[84:87], a[90:91], v[210:211], v[84:87]// 000000004098: D3D70054 0D53A55A
	buffer_load_dwordx4 a[44:47], v34, s[24:27], 0 offen offset:3072// 0000000040A0: E05C1C00 80862C22
	v_mfma_i32_16x16x32_i8 v[84:87], a[92:93], v[212:213], v[84:87]// 0000000040A8: D3D70054 0D53A95C
	v_mfma_i32_16x16x32_i8 v[84:87], a[94:95], v[214:215], v[84:87]// 0000000040B0: D3D70054 0D53AD5E
	ds_read_b128 v[180:183], v2 offset:1216                    // 0000000040B8: D9FE04C0 B4000002
	s_add_u32 s60, 0x200, s80                                  // 0000000040C0: 803C50FF 00000200
	s_cmp_lt_u32 s60, s81                                      // 0000000040C8: BF0A513C
	s_cselect_b32 s57, s57, 0                                  // 0000000040CC: 85398039
	s_add_u32 s60, 0x200, s80                                  // 0000000040D0: 803C50FF 00000200
	s_cmp_lt_u32 s60, s81                                      // 0000000040D8: BF0A513C
	s_cselect_b32 s58, s58, 0                                  // 0000000040DC: 853A803A
	s_add_u32 s20, s57, s20                                    // 0000000040E0: 80141439
	s_addc_u32 s21, 0, s21                                     // 0000000040E4: 82151580
	s_add_u32 s24, s58, s24                                    // 0000000040E8: 8018183A
	s_addc_u32 s25, 0, s25                                     // 0000000040EC: 82191980
	s_add_u32 s92, s90, s92                                    // 0000000040F0: 805C5C5A
	s_addc_u32 s93, 0, s93                                     // 0000000040F4: 825D5D80
	s_addk_i32 s80, 0x100                                      // 0000000040F8: B7500100
	s_cmp_lt_i32 s80, s81                                      // 0000000040FC: BF045150
	s_cbranch_scc0 label_04C2                                  // 000000004100: BF840001
	s_branch label_0255                                        // 000000004104: BF82FD93

0000000000004108 <label_04C2>:
	s_mov_b32 s36, -1                                          // 000000004108: BEA400C1
	s_mov_b32 s37, -1                                          // 00000000410C: BEA500C1
	s_mov_b64 s[60:61], 0                                      // 000000004110: BEBC0180
	s_cmp_lt_u32 s82, s66                                      // 000000004114: BF0A4252
	s_cselect_b64 s[20:21], s[36:37], s[60:61]                 // 000000004118: 85943C24
	s_cmp_lt_u32 s83, s66                                      // 00000000411C: BF0A4253
	s_cselect_b64 s[22:23], s[36:37], s[60:61]                 // 000000004120: 85963C24
	s_cmp_lt_u32 s84, s66                                      // 000000004124: BF0A4254
	s_cselect_b64 s[24:25], s[36:37], s[60:61]                 // 000000004128: 85983C24
	s_cmp_lt_u32 s85, s66                                      // 00000000412C: BF0A4255
	s_cselect_b64 s[26:27], s[36:37], s[60:61]                 // 000000004130: 859A3C24
	s_cmp_lt_u32 s86, s66                                      // 000000004134: BF0A4256
	s_cselect_b64 s[28:29], s[36:37], s[60:61]                 // 000000004138: 859C3C24
	s_cmp_lt_u32 s87, s66                                      // 00000000413C: BF0A4257
	s_cselect_b64 s[30:31], s[36:37], s[60:61]                 // 000000004140: 859E3C24
	s_cmp_lt_u32 s88, s66                                      // 000000004144: BF0A4258
	s_cselect_b64 s[32:33], s[36:37], s[60:61]                 // 000000004148: 85A03C24
	s_cmp_lt_u32 s89, s66                                      // 00000000414C: BF0A4259
	s_cselect_b64 s[34:35], s[36:37], s[60:61]                 // 000000004150: 85A23C24
	v_cvt_f32_i32_e32 v128, v128                               // 000000004154: 7F000B80
	v_cvt_f32_i32_e32 v129, v129                               // 000000004158: 7F020B81
	v_cvt_f32_i32_e32 v130, v130                               // 00000000415C: 7F040B82
	v_cvt_f32_i32_e32 v131, v131                               // 000000004160: 7F060B83
	v_mul_f32_e32 v128, v13, v128                              // 000000004164: 0B01010D
	v_mul_f32_e32 v129, v13, v129                              // 000000004168: 0B03030D
	v_mul_f32_e32 v130, v13, v130                              // 00000000416C: 0B05050D
	v_mul_f32_e32 v131, v13, v131                              // 000000004170: 0B07070D
	v_mul_f32_dpp v128, v15, v128 row_newbcast:0 row_mask:0xf bank_mask:0xf// 000000004174: 0B0100FA FF01500F
	v_mul_f32_dpp v129, v15, v129 row_newbcast:1 row_mask:0xf bank_mask:0xf// 00000000417C: 0B0302FA FF01510F
	v_mul_f32_dpp v130, v15, v130 row_newbcast:2 row_mask:0xf bank_mask:0xf// 000000004184: 0B0504FA FF01520F
	v_mul_f32_dpp v131, v15, v131 row_newbcast:3 row_mask:0xf bank_mask:0xf// 00000000418C: 0B0706FA FF01530F
	v_cvt_f32_i32_e32 v132, v132                               // 000000004194: 7F080B84
	v_cvt_f32_i32_e32 v133, v133                               // 000000004198: 7F0A0B85
	v_cvt_f32_i32_e32 v134, v134                               // 00000000419C: 7F0C0B86
	v_cvt_f32_i32_e32 v135, v135                               // 0000000041A0: 7F0E0B87
	v_mul_f32_e32 v132, v14, v132                              // 0000000041A4: 0B09090E
	v_mul_f32_e32 v133, v14, v133                              // 0000000041A8: 0B0B0B0E
	v_mul_f32_e32 v134, v14, v134                              // 0000000041AC: 0B0D0D0E
	v_mul_f32_e32 v135, v14, v135                              // 0000000041B0: 0B0F0F0E
	v_mul_f32_dpp v132, v15, v132 row_newbcast:0 row_mask:0xf bank_mask:0xf// 0000000041B4: 0B0908FA FF01500F
	v_mul_f32_dpp v133, v15, v133 row_newbcast:1 row_mask:0xf bank_mask:0xf// 0000000041BC: 0B0B0AFA FF01510F
	v_mul_f32_dpp v134, v15, v134 row_newbcast:2 row_mask:0xf bank_mask:0xf// 0000000041C4: 0B0D0CFA FF01520F
	v_mul_f32_dpp v135, v15, v135 row_newbcast:3 row_mask:0xf bank_mask:0xf// 0000000041CC: 0B0F0EFA FF01530F
	v_cvt_f32_i32_e32 v136, v136                               // 0000000041D4: 7F100B88
	v_cvt_f32_i32_e32 v137, v137                               // 0000000041D8: 7F120B89
	v_cvt_f32_i32_e32 v138, v138                               // 0000000041DC: 7F140B8A
	v_cvt_f32_i32_e32 v139, v139                               // 0000000041E0: 7F160B8B
	v_mul_f32_e32 v136, v13, v136                              // 0000000041E4: 0B11110D
	v_mul_f32_e32 v137, v13, v137                              // 0000000041E8: 0B13130D
	v_mul_f32_e32 v138, v13, v138                              // 0000000041EC: 0B15150D
	v_mul_f32_e32 v139, v13, v139                              // 0000000041F0: 0B17170D
	v_mul_f32_dpp v136, v15, v136 row_newbcast:4 row_mask:0xf bank_mask:0xf// 0000000041F4: 0B1110FA FF01540F
	v_mul_f32_dpp v137, v15, v137 row_newbcast:5 row_mask:0xf bank_mask:0xf// 0000000041FC: 0B1312FA FF01550F
	v_mul_f32_dpp v138, v15, v138 row_newbcast:6 row_mask:0xf bank_mask:0xf// 000000004204: 0B1514FA FF01560F
	v_mul_f32_dpp v139, v15, v139 row_newbcast:7 row_mask:0xf bank_mask:0xf// 00000000420C: 0B1716FA FF01570F
	v_cvt_f32_i32_e32 v140, v140                               // 000000004214: 7F180B8C
	v_cvt_f32_i32_e32 v141, v141                               // 000000004218: 7F1A0B8D
	v_cvt_f32_i32_e32 v142, v142                               // 00000000421C: 7F1C0B8E
	v_cvt_f32_i32_e32 v143, v143                               // 000000004220: 7F1E0B8F
	v_mul_f32_e32 v140, v14, v140                              // 000000004224: 0B19190E
	v_mul_f32_e32 v141, v14, v141                              // 000000004228: 0B1B1B0E
	v_mul_f32_e32 v142, v14, v142                              // 00000000422C: 0B1D1D0E
	v_mul_f32_e32 v143, v14, v143                              // 000000004230: 0B1F1F0E
	v_mul_f32_dpp v140, v15, v140 row_newbcast:4 row_mask:0xf bank_mask:0xf// 000000004234: 0B1918FA FF01540F
	v_mul_f32_dpp v141, v15, v141 row_newbcast:5 row_mask:0xf bank_mask:0xf// 00000000423C: 0B1B1AFA FF01550F
	v_mul_f32_dpp v142, v15, v142 row_newbcast:6 row_mask:0xf bank_mask:0xf// 000000004244: 0B1D1CFA FF01560F
	v_mul_f32_dpp v143, v15, v143 row_newbcast:7 row_mask:0xf bank_mask:0xf// 00000000424C: 0B1F1EFA FF01570F
	v_cvt_f32_i32_e32 v144, v144                               // 000000004254: 7F200B90
	v_cvt_f32_i32_e32 v145, v145                               // 000000004258: 7F220B91
	v_cvt_f32_i32_e32 v146, v146                               // 00000000425C: 7F240B92
	v_cvt_f32_i32_e32 v147, v147                               // 000000004260: 7F260B93
	v_mul_f32_e32 v144, v13, v144                              // 000000004264: 0B21210D
	v_mul_f32_e32 v145, v13, v145                              // 000000004268: 0B23230D
	v_mul_f32_e32 v146, v13, v146                              // 00000000426C: 0B25250D
	v_mul_f32_e32 v147, v13, v147                              // 000000004270: 0B27270D
	v_mul_f32_dpp v144, v15, v144 row_newbcast:8 row_mask:0xf bank_mask:0xf// 000000004274: 0B2120FA FF01580F
	v_mul_f32_dpp v145, v15, v145 row_newbcast:9 row_mask:0xf bank_mask:0xf// 00000000427C: 0B2322FA FF01590F
	v_mul_f32_dpp v146, v15, v146 row_newbcast:10 row_mask:0xf bank_mask:0xf// 000000004284: 0B2524FA FF015A0F
	v_mul_f32_dpp v147, v15, v147 row_newbcast:11 row_mask:0xf bank_mask:0xf// 00000000428C: 0B2726FA FF015B0F
	v_cvt_f32_i32_e32 v148, v148                               // 000000004294: 7F280B94
	v_cvt_f32_i32_e32 v149, v149                               // 000000004298: 7F2A0B95
	v_cvt_f32_i32_e32 v150, v150                               // 00000000429C: 7F2C0B96
	v_cvt_f32_i32_e32 v151, v151                               // 0000000042A0: 7F2E0B97
	v_mul_f32_e32 v148, v14, v148                              // 0000000042A4: 0B29290E
	v_mul_f32_e32 v149, v14, v149                              // 0000000042A8: 0B2B2B0E
	v_mul_f32_e32 v150, v14, v150                              // 0000000042AC: 0B2D2D0E
	v_mul_f32_e32 v151, v14, v151                              // 0000000042B0: 0B2F2F0E
	v_mul_f32_dpp v148, v15, v148 row_newbcast:8 row_mask:0xf bank_mask:0xf// 0000000042B4: 0B2928FA FF01580F
	v_mul_f32_dpp v149, v15, v149 row_newbcast:9 row_mask:0xf bank_mask:0xf// 0000000042BC: 0B2B2AFA FF01590F
	v_mul_f32_dpp v150, v15, v150 row_newbcast:10 row_mask:0xf bank_mask:0xf// 0000000042C4: 0B2D2CFA FF015A0F
	v_mul_f32_dpp v151, v15, v151 row_newbcast:11 row_mask:0xf bank_mask:0xf// 0000000042CC: 0B2F2EFA FF015B0F
	v_cvt_f32_i32_e32 v64, v64                                 // 0000000042D4: 7E800B40
	v_cvt_f32_i32_e32 v65, v65                                 // 0000000042D8: 7E820B41
	v_cvt_f32_i32_e32 v66, v66                                 // 0000000042DC: 7E840B42
	v_cvt_f32_i32_e32 v67, v67                                 // 0000000042E0: 7E860B43
	v_mul_f32_e32 v64, v13, v64                                // 0000000042E4: 0A80810D
	v_mul_f32_e32 v65, v13, v65                                // 0000000042E8: 0A82830D
	v_mul_f32_e32 v66, v13, v66                                // 0000000042EC: 0A84850D
	v_mul_f32_e32 v67, v13, v67                                // 0000000042F0: 0A86870D
	v_mul_f32_dpp v64, v43, v64 row_newbcast:0 row_mask:0xf bank_mask:0xf// 0000000042F4: 0A8080FA FF01502B
	v_mul_f32_dpp v65, v43, v65 row_newbcast:1 row_mask:0xf bank_mask:0xf// 0000000042FC: 0A8282FA FF01512B
	v_mul_f32_dpp v66, v43, v66 row_newbcast:2 row_mask:0xf bank_mask:0xf// 000000004304: 0A8484FA FF01522B
	v_mul_f32_dpp v67, v43, v67 row_newbcast:3 row_mask:0xf bank_mask:0xf// 00000000430C: 0A8686FA FF01532B
	v_cvt_f32_i32_e32 v68, v68                                 // 000000004314: 7E880B44
	v_cvt_f32_i32_e32 v69, v69                                 // 000000004318: 7E8A0B45
	v_cvt_f32_i32_e32 v70, v70                                 // 00000000431C: 7E8C0B46
	v_cvt_f32_i32_e32 v71, v71                                 // 000000004320: 7E8E0B47
	v_mul_f32_e32 v68, v14, v68                                // 000000004324: 0A88890E
	v_mul_f32_e32 v69, v14, v69                                // 000000004328: 0A8A8B0E
	v_mul_f32_e32 v70, v14, v70                                // 00000000432C: 0A8C8D0E
	v_mul_f32_e32 v71, v14, v71                                // 000000004330: 0A8E8F0E
	v_mul_f32_dpp v68, v43, v68 row_newbcast:0 row_mask:0xf bank_mask:0xf// 000000004334: 0A8888FA FF01502B
	v_mul_f32_dpp v69, v43, v69 row_newbcast:1 row_mask:0xf bank_mask:0xf// 00000000433C: 0A8A8AFA FF01512B
	v_mul_f32_dpp v70, v43, v70 row_newbcast:2 row_mask:0xf bank_mask:0xf// 000000004344: 0A8C8CFA FF01522B
	v_mul_f32_dpp v71, v43, v71 row_newbcast:3 row_mask:0xf bank_mask:0xf// 00000000434C: 0A8E8EFA FF01532B
	v_cvt_f32_i32_e32 v72, v72                                 // 000000004354: 7E900B48
	v_cvt_f32_i32_e32 v73, v73                                 // 000000004358: 7E920B49
	v_cvt_f32_i32_e32 v74, v74                                 // 00000000435C: 7E940B4A
	v_cvt_f32_i32_e32 v75, v75                                 // 000000004360: 7E960B4B
	v_mul_f32_e32 v72, v13, v72                                // 000000004364: 0A90910D
	v_mul_f32_e32 v73, v13, v73                                // 000000004368: 0A92930D
	v_mul_f32_e32 v74, v13, v74                                // 00000000436C: 0A94950D
	v_mul_f32_e32 v75, v13, v75                                // 000000004370: 0A96970D
	v_mul_f32_dpp v72, v43, v72 row_newbcast:4 row_mask:0xf bank_mask:0xf// 000000004374: 0A9090FA FF01542B
	v_mul_f32_dpp v73, v43, v73 row_newbcast:5 row_mask:0xf bank_mask:0xf// 00000000437C: 0A9292FA FF01552B
	v_mul_f32_dpp v74, v43, v74 row_newbcast:6 row_mask:0xf bank_mask:0xf// 000000004384: 0A9494FA FF01562B
	v_mul_f32_dpp v75, v43, v75 row_newbcast:7 row_mask:0xf bank_mask:0xf// 00000000438C: 0A9696FA FF01572B
	v_cvt_f32_i32_e32 v76, v76                                 // 000000004394: 7E980B4C
	v_cvt_f32_i32_e32 v77, v77                                 // 000000004398: 7E9A0B4D
	v_cvt_f32_i32_e32 v78, v78                                 // 00000000439C: 7E9C0B4E
	v_cvt_f32_i32_e32 v79, v79                                 // 0000000043A0: 7E9E0B4F
	v_mul_f32_e32 v76, v14, v76                                // 0000000043A4: 0A98990E
	v_mul_f32_e32 v77, v14, v77                                // 0000000043A8: 0A9A9B0E
	v_mul_f32_e32 v78, v14, v78                                // 0000000043AC: 0A9C9D0E
	v_mul_f32_e32 v79, v14, v79                                // 0000000043B0: 0A9E9F0E
	v_mul_f32_dpp v76, v43, v76 row_newbcast:4 row_mask:0xf bank_mask:0xf// 0000000043B4: 0A9898FA FF01542B
	v_mul_f32_dpp v77, v43, v77 row_newbcast:5 row_mask:0xf bank_mask:0xf// 0000000043BC: 0A9A9AFA FF01552B
	v_mul_f32_dpp v78, v43, v78 row_newbcast:6 row_mask:0xf bank_mask:0xf// 0000000043C4: 0A9C9CFA FF01562B
	v_mul_f32_dpp v79, v43, v79 row_newbcast:7 row_mask:0xf bank_mask:0xf// 0000000043CC: 0A9E9EFA FF01572B
	v_cvt_f32_i32_e32 v80, v80                                 // 0000000043D4: 7EA00B50
	v_cvt_f32_i32_e32 v81, v81                                 // 0000000043D8: 7EA20B51
	v_cvt_f32_i32_e32 v82, v82                                 // 0000000043DC: 7EA40B52
	v_cvt_f32_i32_e32 v83, v83                                 // 0000000043E0: 7EA60B53
	v_mul_f32_e32 v80, v13, v80                                // 0000000043E4: 0AA0A10D
	v_mul_f32_e32 v81, v13, v81                                // 0000000043E8: 0AA2A30D
	v_mul_f32_e32 v82, v13, v82                                // 0000000043EC: 0AA4A50D
	v_mul_f32_e32 v83, v13, v83                                // 0000000043F0: 0AA6A70D
	v_mul_f32_dpp v80, v43, v80 row_newbcast:8 row_mask:0xf bank_mask:0xf// 0000000043F4: 0AA0A0FA FF01582B
	v_mul_f32_dpp v81, v43, v81 row_newbcast:9 row_mask:0xf bank_mask:0xf// 0000000043FC: 0AA2A2FA FF01592B
	v_mul_f32_dpp v82, v43, v82 row_newbcast:10 row_mask:0xf bank_mask:0xf// 000000004404: 0AA4A4FA FF015A2B
	v_mul_f32_dpp v83, v43, v83 row_newbcast:11 row_mask:0xf bank_mask:0xf// 00000000440C: 0AA6A6FA FF015B2B
	v_cvt_f32_i32_e32 v84, v84                                 // 000000004414: 7EA80B54
	v_cvt_f32_i32_e32 v85, v85                                 // 000000004418: 7EAA0B55
	v_cvt_f32_i32_e32 v86, v86                                 // 00000000441C: 7EAC0B56
	v_cvt_f32_i32_e32 v87, v87                                 // 000000004420: 7EAE0B57
	v_mul_f32_e32 v84, v14, v84                                // 000000004424: 0AA8A90E
	v_mul_f32_e32 v85, v14, v85                                // 000000004428: 0AAAAB0E
	v_mul_f32_e32 v86, v14, v86                                // 00000000442C: 0AACAD0E
	v_mul_f32_e32 v87, v14, v87                                // 000000004430: 0AAEAF0E
	v_mul_f32_dpp v84, v43, v84 row_newbcast:8 row_mask:0xf bank_mask:0xf// 000000004434: 0AA8A8FA FF01582B
	v_mul_f32_dpp v85, v43, v85 row_newbcast:9 row_mask:0xf bank_mask:0xf// 00000000443C: 0AAAAAFA FF01592B
	v_mul_f32_dpp v86, v43, v86 row_newbcast:10 row_mask:0xf bank_mask:0xf// 000000004444: 0AACACFA FF015A2B
	v_mul_f32_dpp v87, v43, v87 row_newbcast:11 row_mask:0xf bank_mask:0xf// 00000000444C: 0AAEAEFA FF015B2B
	s_waitcnt vmcnt(8)                                         // 000000004454: BF8C0F78
	buffer_load_dwordx4 a[0:3], v35, s[12:15], 0 offen         // 000000004458: E05C1000 80830023
	v_mul_f32_e32 v44, v128, v128                              // 000000004460: 0A590180
	v_mul_f32_e32 v45, v129, v129                              // 000000004464: 0A5B0381
	v_mul_f32_e32 v46, v130, v130                              // 000000004468: 0A5D0582
	v_mul_f32_e32 v47, v131, v131                              // 00000000446C: 0A5F0783
	v_fma_f32 v44, v44, s77, v1                                // 000000004470: D1CB002C 04049B2C
	v_fma_f32 v45, v45, s77, v1                                // 000000004478: D1CB002D 04049B2D
	v_fma_f32 v46, v46, s77, v1                                // 000000004480: D1CB002E 04049B2E
	v_fma_f32 v47, v47, s77, v1                                // 000000004488: D1CB002F 04049B2F
	v_mul_f32_e32 v44, v44, v128                               // 000000004490: 0A59012C
	v_mul_f32_e32 v45, v45, v129                               // 000000004494: 0A5B032D
	v_mul_f32_e32 v46, v46, v130                               // 000000004498: 0A5D052E
	v_mul_f32_e32 v47, v47, v131                               // 00000000449C: 0A5F072F
	v_mul_f32_e64 v44, v44, s6                                 // 0000000044A0: D105002C 00000D2C
	v_mul_f32_e64 v45, v45, s6                                 // 0000000044A8: D105002D 00000D2D
	v_mul_f32_e64 v46, v46, s6                                 // 0000000044B0: D105002E 00000D2E
	v_mul_f32_e64 v47, v47, s6                                 // 0000000044B8: D105002F 00000D2F
	v_exp_f32_e32 v44, v44                                     // 0000000044C0: 7E58412C
	v_exp_f32_e32 v45, v45                                     // 0000000044C4: 7E5A412D
	v_exp_f32_e32 v46, v46                                     // 0000000044C8: 7E5C412E
	v_exp_f32_e32 v47, v47                                     // 0000000044CC: 7E5E412F
	buffer_load_dwordx4 a[4:7], v36, s[12:15], 0 offen         // 0000000044D0: E05C1000 80830424
	v_add_f32_e64 v44, v44, 1.0                                // 0000000044D8: D101002C 0001E52C
	v_add_f32_e64 v45, v45, 1.0                                // 0000000044E0: D101002D 0001E52D
	v_add_f32_e64 v46, v46, 1.0                                // 0000000044E8: D101002E 0001E52E
	v_add_f32_e64 v47, v47, 1.0                                // 0000000044F0: D101002F 0001E52F
	v_rcp_f32_e32 v44, v44                                     // 0000000044F8: 7E58452C
	v_rcp_f32_e32 v45, v45                                     // 0000000044FC: 7E5A452D
	v_rcp_f32_e32 v46, v46                                     // 000000004500: 7E5C452E
	v_rcp_f32_e32 v47, v47                                     // 000000004504: 7E5E452F
	v_mul_f32_e32 v128, v128, v44                              // 000000004508: 0B005980
	v_mul_f32_e32 v129, v129, v45                              // 00000000450C: 0B025B81
	v_mul_f32_e32 v130, v130, v46                              // 000000004510: 0B045D82
	v_mul_f32_e32 v131, v131, v47                              // 000000004514: 0B065F83
	v_mul_f32_e32 v128, v128, v64                              // 000000004518: 0B008180
	v_mul_f32_e32 v129, v129, v65                              // 00000000451C: 0B028381
	v_mul_f32_e32 v130, v130, v66                              // 000000004520: 0B048582
	v_mul_f32_e32 v131, v131, v67                              // 000000004524: 0B068783
	buffer_load_dwordx4 a[8:11], v37, s[12:15], 0 offen        // 000000004528: E05C1000 80830825
	v_mul_f32_e32 v44, v132, v132                              // 000000004530: 0A590984
	v_mul_f32_e32 v45, v133, v133                              // 000000004534: 0A5B0B85
	v_mul_f32_e32 v46, v134, v134                              // 000000004538: 0A5D0D86
	v_mul_f32_e32 v47, v135, v135                              // 00000000453C: 0A5F0F87
	v_fma_f32 v44, v44, s77, v1                                // 000000004540: D1CB002C 04049B2C
	v_fma_f32 v45, v45, s77, v1                                // 000000004548: D1CB002D 04049B2D
	v_fma_f32 v46, v46, s77, v1                                // 000000004550: D1CB002E 04049B2E
	v_fma_f32 v47, v47, s77, v1                                // 000000004558: D1CB002F 04049B2F
	v_mul_f32_e32 v44, v44, v132                               // 000000004560: 0A59092C
	v_mul_f32_e32 v45, v45, v133                               // 000000004564: 0A5B0B2D
	v_mul_f32_e32 v46, v46, v134                               // 000000004568: 0A5D0D2E
	v_mul_f32_e32 v47, v47, v135                               // 00000000456C: 0A5F0F2F
	v_mul_f32_e64 v44, v44, s6                                 // 000000004570: D105002C 00000D2C
	v_mul_f32_e64 v45, v45, s6                                 // 000000004578: D105002D 00000D2D
	v_mul_f32_e64 v46, v46, s6                                 // 000000004580: D105002E 00000D2E
	v_mul_f32_e64 v47, v47, s6                                 // 000000004588: D105002F 00000D2F
	v_exp_f32_e32 v44, v44                                     // 000000004590: 7E58412C
	v_exp_f32_e32 v45, v45                                     // 000000004594: 7E5A412D
	v_exp_f32_e32 v46, v46                                     // 000000004598: 7E5C412E
	v_exp_f32_e32 v47, v47                                     // 00000000459C: 7E5E412F
	buffer_load_dwordx4 a[12:15], v38, s[12:15], 0 offen       // 0000000045A0: E05C1000 80830C26
	s_add_u32 s12, s78, s12                                    // 0000000045A8: 800C0C4E
	s_addc_u32 s13, 0, s13                                     // 0000000045AC: 820D0D80
	v_add_f32_e64 v44, v44, 1.0                                // 0000000045B0: D101002C 0001E52C
	v_add_f32_e64 v45, v45, 1.0                                // 0000000045B8: D101002D 0001E52D
	v_add_f32_e64 v46, v46, 1.0                                // 0000000045C0: D101002E 0001E52E
	v_add_f32_e64 v47, v47, 1.0                                // 0000000045C8: D101002F 0001E52F
	v_rcp_f32_e32 v44, v44                                     // 0000000045D0: 7E58452C
	v_rcp_f32_e32 v45, v45                                     // 0000000045D4: 7E5A452D
	v_rcp_f32_e32 v46, v46                                     // 0000000045D8: 7E5C452E
	v_rcp_f32_e32 v47, v47                                     // 0000000045DC: 7E5E452F
	v_mul_f32_e32 v132, v132, v44                              // 0000000045E0: 0B085984
	v_mul_f32_e32 v133, v133, v45                              // 0000000045E4: 0B0A5B85
	v_mul_f32_e32 v134, v134, v46                              // 0000000045E8: 0B0C5D86
	v_mul_f32_e32 v135, v135, v47                              // 0000000045EC: 0B0E5F87
	v_mul_f32_e32 v132, v132, v68                              // 0000000045F0: 0B088984
	v_mul_f32_e32 v133, v133, v69                              // 0000000045F4: 0B0A8B85
	v_mul_f32_e32 v134, v134, v70                              // 0000000045F8: 0B0C8D86
	v_mul_f32_e32 v135, v135, v71                              // 0000000045FC: 0B0E8F87
	s_waitcnt vmcnt(8)                                         // 000000004600: BF8C0F78
	buffer_load_dwordx4 a[16:19], v35, s[12:15], 0 offen       // 000000004604: E05C1000 80831023
	v_mul_f32_e32 v44, v136, v136                              // 00000000460C: 0A591188
	v_mul_f32_e32 v45, v137, v137                              // 000000004610: 0A5B1389
	v_mul_f32_e32 v46, v138, v138                              // 000000004614: 0A5D158A
	v_mul_f32_e32 v47, v139, v139                              // 000000004618: 0A5F178B
	v_fma_f32 v44, v44, s77, v1                                // 00000000461C: D1CB002C 04049B2C
	v_fma_f32 v45, v45, s77, v1                                // 000000004624: D1CB002D 04049B2D
	v_fma_f32 v46, v46, s77, v1                                // 00000000462C: D1CB002E 04049B2E
	v_fma_f32 v47, v47, s77, v1                                // 000000004634: D1CB002F 04049B2F
	v_mul_f32_e32 v44, v44, v136                               // 00000000463C: 0A59112C
	v_mul_f32_e32 v45, v45, v137                               // 000000004640: 0A5B132D
	v_mul_f32_e32 v46, v46, v138                               // 000000004644: 0A5D152E
	v_mul_f32_e32 v47, v47, v139                               // 000000004648: 0A5F172F
	v_mul_f32_e64 v44, v44, s6                                 // 00000000464C: D105002C 00000D2C
	v_mul_f32_e64 v45, v45, s6                                 // 000000004654: D105002D 00000D2D
	v_mul_f32_e64 v46, v46, s6                                 // 00000000465C: D105002E 00000D2E
	v_mul_f32_e64 v47, v47, s6                                 // 000000004664: D105002F 00000D2F
	v_exp_f32_e32 v44, v44                                     // 00000000466C: 7E58412C
	v_exp_f32_e32 v45, v45                                     // 000000004670: 7E5A412D
	v_exp_f32_e32 v46, v46                                     // 000000004674: 7E5C412E
	v_exp_f32_e32 v47, v47                                     // 000000004678: 7E5E412F
	buffer_load_dwordx4 a[20:23], v36, s[12:15], 0 offen       // 00000000467C: E05C1000 80831424
	v_add_f32_e64 v44, v44, 1.0                                // 000000004684: D101002C 0001E52C
	v_add_f32_e64 v45, v45, 1.0                                // 00000000468C: D101002D 0001E52D
	v_add_f32_e64 v46, v46, 1.0                                // 000000004694: D101002E 0001E52E
	v_add_f32_e64 v47, v47, 1.0                                // 00000000469C: D101002F 0001E52F
	v_rcp_f32_e32 v44, v44                                     // 0000000046A4: 7E58452C
	v_rcp_f32_e32 v45, v45                                     // 0000000046A8: 7E5A452D
	v_rcp_f32_e32 v46, v46                                     // 0000000046AC: 7E5C452E
	v_rcp_f32_e32 v47, v47                                     // 0000000046B0: 7E5E452F
	v_mul_f32_e32 v136, v136, v44                              // 0000000046B4: 0B105988
	v_mul_f32_e32 v137, v137, v45                              // 0000000046B8: 0B125B89
	v_mul_f32_e32 v138, v138, v46                              // 0000000046BC: 0B145D8A
	v_mul_f32_e32 v139, v139, v47                              // 0000000046C0: 0B165F8B
	v_mul_f32_e32 v136, v136, v72                              // 0000000046C4: 0B109188
	v_mul_f32_e32 v137, v137, v73                              // 0000000046C8: 0B129389
	v_mul_f32_e32 v138, v138, v74                              // 0000000046CC: 0B14958A
	v_mul_f32_e32 v139, v139, v75                              // 0000000046D0: 0B16978B
	buffer_load_dwordx4 a[24:27], v37, s[12:15], 0 offen       // 0000000046D4: E05C1000 80831825
	v_mul_f32_e32 v44, v140, v140                              // 0000000046DC: 0A59198C
	v_mul_f32_e32 v45, v141, v141                              // 0000000046E0: 0A5B1B8D
	v_mul_f32_e32 v46, v142, v142                              // 0000000046E4: 0A5D1D8E
	v_mul_f32_e32 v47, v143, v143                              // 0000000046E8: 0A5F1F8F
	v_fma_f32 v44, v44, s77, v1                                // 0000000046EC: D1CB002C 04049B2C
	v_fma_f32 v45, v45, s77, v1                                // 0000000046F4: D1CB002D 04049B2D
	v_fma_f32 v46, v46, s77, v1                                // 0000000046FC: D1CB002E 04049B2E
	v_fma_f32 v47, v47, s77, v1                                // 000000004704: D1CB002F 04049B2F
	v_mul_f32_e32 v44, v44, v140                               // 00000000470C: 0A59192C
	v_mul_f32_e32 v45, v45, v141                               // 000000004710: 0A5B1B2D
	v_mul_f32_e32 v46, v46, v142                               // 000000004714: 0A5D1D2E
	v_mul_f32_e32 v47, v47, v143                               // 000000004718: 0A5F1F2F
	v_mul_f32_e64 v44, v44, s6                                 // 00000000471C: D105002C 00000D2C
	v_mul_f32_e64 v45, v45, s6                                 // 000000004724: D105002D 00000D2D
	v_mul_f32_e64 v46, v46, s6                                 // 00000000472C: D105002E 00000D2E
	v_mul_f32_e64 v47, v47, s6                                 // 000000004734: D105002F 00000D2F
	v_exp_f32_e32 v44, v44                                     // 00000000473C: 7E58412C
	v_exp_f32_e32 v45, v45                                     // 000000004740: 7E5A412D
	v_exp_f32_e32 v46, v46                                     // 000000004744: 7E5C412E
	v_exp_f32_e32 v47, v47                                     // 000000004748: 7E5E412F
	buffer_load_dwordx4 a[28:31], v38, s[12:15], 0 offen       // 00000000474C: E05C1000 80831C26
	s_add_u32 s12, s78, s12                                    // 000000004754: 800C0C4E
	s_addc_u32 s13, 0, s13                                     // 000000004758: 820D0D80
	v_add_f32_e64 v44, v44, 1.0                                // 00000000475C: D101002C 0001E52C
	v_add_f32_e64 v45, v45, 1.0                                // 000000004764: D101002D 0001E52D
	v_add_f32_e64 v46, v46, 1.0                                // 00000000476C: D101002E 0001E52E
	v_add_f32_e64 v47, v47, 1.0                                // 000000004774: D101002F 0001E52F
	v_rcp_f32_e32 v44, v44                                     // 00000000477C: 7E58452C
	v_rcp_f32_e32 v45, v45                                     // 000000004780: 7E5A452D
	v_rcp_f32_e32 v46, v46                                     // 000000004784: 7E5C452E
	v_rcp_f32_e32 v47, v47                                     // 000000004788: 7E5E452F
	v_mul_f32_e32 v140, v140, v44                              // 00000000478C: 0B18598C
	v_mul_f32_e32 v141, v141, v45                              // 000000004790: 0B1A5B8D
	v_mul_f32_e32 v142, v142, v46                              // 000000004794: 0B1C5D8E
	v_mul_f32_e32 v143, v143, v47                              // 000000004798: 0B1E5F8F
	v_mul_f32_e32 v140, v140, v76                              // 00000000479C: 0B18998C
	v_mul_f32_e32 v141, v141, v77                              // 0000000047A0: 0B1A9B8D
	v_mul_f32_e32 v142, v142, v78                              // 0000000047A4: 0B1C9D8E
	v_mul_f32_e32 v143, v143, v79                              // 0000000047A8: 0B1E9F8F
	s_waitcnt vmcnt(8)                                         // 0000000047AC: BF8C0F78
	buffer_load_dwordx4 a[32:35], v35, s[12:15], 0 offen       // 0000000047B0: E05C1000 80832023
	v_mul_f32_e32 v44, v144, v144                              // 0000000047B8: 0A592190
	v_mul_f32_e32 v45, v145, v145                              // 0000000047BC: 0A5B2391
	v_mul_f32_e32 v46, v146, v146                              // 0000000047C0: 0A5D2592
	v_mul_f32_e32 v47, v147, v147                              // 0000000047C4: 0A5F2793
	v_fma_f32 v44, v44, s77, v1                                // 0000000047C8: D1CB002C 04049B2C
	v_fma_f32 v45, v45, s77, v1                                // 0000000047D0: D1CB002D 04049B2D
	v_fma_f32 v46, v46, s77, v1                                // 0000000047D8: D1CB002E 04049B2E
	v_fma_f32 v47, v47, s77, v1                                // 0000000047E0: D1CB002F 04049B2F
	v_mul_f32_e32 v44, v44, v144                               // 0000000047E8: 0A59212C
	v_mul_f32_e32 v45, v45, v145                               // 0000000047EC: 0A5B232D
	v_mul_f32_e32 v46, v46, v146                               // 0000000047F0: 0A5D252E
	v_mul_f32_e32 v47, v47, v147                               // 0000000047F4: 0A5F272F
	v_mul_f32_e64 v44, v44, s6                                 // 0000000047F8: D105002C 00000D2C
	v_mul_f32_e64 v45, v45, s6                                 // 000000004800: D105002D 00000D2D
	v_mul_f32_e64 v46, v46, s6                                 // 000000004808: D105002E 00000D2E
	v_mul_f32_e64 v47, v47, s6                                 // 000000004810: D105002F 00000D2F
	v_exp_f32_e32 v44, v44                                     // 000000004818: 7E58412C
	v_exp_f32_e32 v45, v45                                     // 00000000481C: 7E5A412D
	v_exp_f32_e32 v46, v46                                     // 000000004820: 7E5C412E
	v_exp_f32_e32 v47, v47                                     // 000000004824: 7E5E412F
	buffer_load_dwordx4 a[36:39], v36, s[12:15], 0 offen       // 000000004828: E05C1000 80832424
	v_add_f32_e64 v44, v44, 1.0                                // 000000004830: D101002C 0001E52C
	v_add_f32_e64 v45, v45, 1.0                                // 000000004838: D101002D 0001E52D
	v_add_f32_e64 v46, v46, 1.0                                // 000000004840: D101002E 0001E52E
	v_add_f32_e64 v47, v47, 1.0                                // 000000004848: D101002F 0001E52F
	v_rcp_f32_e32 v44, v44                                     // 000000004850: 7E58452C
	v_rcp_f32_e32 v45, v45                                     // 000000004854: 7E5A452D
	v_rcp_f32_e32 v46, v46                                     // 000000004858: 7E5C452E
	v_rcp_f32_e32 v47, v47                                     // 00000000485C: 7E5E452F
	v_mul_f32_e32 v144, v144, v44                              // 000000004860: 0B205990
	v_mul_f32_e32 v145, v145, v45                              // 000000004864: 0B225B91
	v_mul_f32_e32 v146, v146, v46                              // 000000004868: 0B245D92
	v_mul_f32_e32 v147, v147, v47                              // 00000000486C: 0B265F93
	v_mul_f32_e32 v144, v144, v80                              // 000000004870: 0B20A190
	v_mul_f32_e32 v145, v145, v81                              // 000000004874: 0B22A391
	v_mul_f32_e32 v146, v146, v82                              // 000000004878: 0B24A592
	v_mul_f32_e32 v147, v147, v83                              // 00000000487C: 0B26A793
	buffer_load_dwordx4 a[40:43], v37, s[12:15], 0 offen       // 000000004880: E05C1000 80832825
	v_mul_f32_e32 v44, v148, v148                              // 000000004888: 0A592994
	v_mul_f32_e32 v45, v149, v149                              // 00000000488C: 0A5B2B95
	v_mul_f32_e32 v46, v150, v150                              // 000000004890: 0A5D2D96
	v_mul_f32_e32 v47, v151, v151                              // 000000004894: 0A5F2F97
	v_fma_f32 v44, v44, s77, v1                                // 000000004898: D1CB002C 04049B2C
	v_fma_f32 v45, v45, s77, v1                                // 0000000048A0: D1CB002D 04049B2D
	v_fma_f32 v46, v46, s77, v1                                // 0000000048A8: D1CB002E 04049B2E
	v_fma_f32 v47, v47, s77, v1                                // 0000000048B0: D1CB002F 04049B2F
	v_mul_f32_e32 v44, v44, v148                               // 0000000048B8: 0A59292C
	v_mul_f32_e32 v45, v45, v149                               // 0000000048BC: 0A5B2B2D
	v_mul_f32_e32 v46, v46, v150                               // 0000000048C0: 0A5D2D2E
	v_mul_f32_e32 v47, v47, v151                               // 0000000048C4: 0A5F2F2F
	v_mul_f32_e64 v44, v44, s6                                 // 0000000048C8: D105002C 00000D2C
	v_mul_f32_e64 v45, v45, s6                                 // 0000000048D0: D105002D 00000D2D
	v_mul_f32_e64 v46, v46, s6                                 // 0000000048D8: D105002E 00000D2E
	v_mul_f32_e64 v47, v47, s6                                 // 0000000048E0: D105002F 00000D2F
	v_exp_f32_e32 v44, v44                                     // 0000000048E8: 7E58412C
	v_exp_f32_e32 v45, v45                                     // 0000000048EC: 7E5A412D
	v_exp_f32_e32 v46, v46                                     // 0000000048F0: 7E5C412E
	v_exp_f32_e32 v47, v47                                     // 0000000048F4: 7E5E412F
	buffer_load_dwordx4 a[44:47], v38, s[12:15], 0 offen       // 0000000048F8: E05C1000 80832C26
	v_add_f32_e64 v44, v44, 1.0                                // 000000004900: D101002C 0001E52C
	v_add_f32_e64 v45, v45, 1.0                                // 000000004908: D101002D 0001E52D
	v_add_f32_e64 v46, v46, 1.0                                // 000000004910: D101002E 0001E52E
	v_add_f32_e64 v47, v47, 1.0                                // 000000004918: D101002F 0001E52F
	v_rcp_f32_e32 v44, v44                                     // 000000004920: 7E58452C
	v_rcp_f32_e32 v45, v45                                     // 000000004924: 7E5A452D
	v_rcp_f32_e32 v46, v46                                     // 000000004928: 7E5C452E
	v_rcp_f32_e32 v47, v47                                     // 00000000492C: 7E5E452F
	v_mul_f32_e32 v148, v148, v44                              // 000000004930: 0B285994
	v_mul_f32_e32 v149, v149, v45                              // 000000004934: 0B2A5B95
	v_mul_f32_e32 v150, v150, v46                              // 000000004938: 0B2C5D96
	v_mul_f32_e32 v151, v151, v47                              // 00000000493C: 0B2E5F97
	v_mul_f32_e32 v148, v148, v84                              // 000000004940: 0B28A994
	v_mul_f32_e32 v149, v149, v85                              // 000000004944: 0B2AAB95
	v_mul_f32_e32 v150, v150, v86                              // 000000004948: 0B2CAD96
	v_mul_f32_e32 v151, v151, v87                              // 00000000494C: 0B2EAF97
	v_mul_f32_dpp v128, v16, v128 row_newbcast:0 row_mask:0xf bank_mask:0xf// 000000004950: 0B0100FA FF015010
	v_mul_f32_dpp v129, v16, v129 row_newbcast:1 row_mask:0xf bank_mask:0xf// 000000004958: 0B0302FA FF015110
	v_mul_f32_dpp v130, v16, v130 row_newbcast:2 row_mask:0xf bank_mask:0xf// 000000004960: 0B0504FA FF015210
	v_mul_f32_dpp v131, v16, v131 row_newbcast:3 row_mask:0xf bank_mask:0xf// 000000004968: 0B0706FA FF015310
	v_mul_f32_dpp v132, v16, v132 row_newbcast:0 row_mask:0xf bank_mask:0xf// 000000004970: 0B0908FA FF015010
	v_mul_f32_dpp v133, v16, v133 row_newbcast:1 row_mask:0xf bank_mask:0xf// 000000004978: 0B0B0AFA FF015110
	v_mul_f32_dpp v134, v16, v134 row_newbcast:2 row_mask:0xf bank_mask:0xf// 000000004980: 0B0D0CFA FF015210
	v_mul_f32_dpp v135, v16, v135 row_newbcast:3 row_mask:0xf bank_mask:0xf// 000000004988: 0B0F0EFA FF015310
	v_mul_f32_dpp v136, v16, v136 row_newbcast:4 row_mask:0xf bank_mask:0xf// 000000004990: 0B1110FA FF015410
	v_mul_f32_dpp v137, v16, v137 row_newbcast:5 row_mask:0xf bank_mask:0xf// 000000004998: 0B1312FA FF015510
	v_mul_f32_dpp v138, v16, v138 row_newbcast:6 row_mask:0xf bank_mask:0xf// 0000000049A0: 0B1514FA FF015610
	v_mul_f32_dpp v139, v16, v139 row_newbcast:7 row_mask:0xf bank_mask:0xf// 0000000049A8: 0B1716FA FF015710
	v_mul_f32_dpp v140, v16, v140 row_newbcast:4 row_mask:0xf bank_mask:0xf// 0000000049B0: 0B1918FA FF015410
	v_mul_f32_dpp v141, v16, v141 row_newbcast:5 row_mask:0xf bank_mask:0xf// 0000000049B8: 0B1B1AFA FF015510
	v_mul_f32_dpp v142, v16, v142 row_newbcast:6 row_mask:0xf bank_mask:0xf// 0000000049C0: 0B1D1CFA FF015610
	v_mul_f32_dpp v143, v16, v143 row_newbcast:7 row_mask:0xf bank_mask:0xf// 0000000049C8: 0B1F1EFA FF015710
	v_mul_f32_dpp v144, v16, v144 row_newbcast:8 row_mask:0xf bank_mask:0xf// 0000000049D0: 0B2120FA FF015810
	v_mul_f32_dpp v145, v16, v145 row_newbcast:9 row_mask:0xf bank_mask:0xf// 0000000049D8: 0B2322FA FF015910
	v_mul_f32_dpp v146, v16, v146 row_newbcast:10 row_mask:0xf bank_mask:0xf// 0000000049E0: 0B2524FA FF015A10
	v_mul_f32_dpp v147, v16, v147 row_newbcast:11 row_mask:0xf bank_mask:0xf// 0000000049E8: 0B2726FA FF015B10
	v_mul_f32_dpp v148, v16, v148 row_newbcast:8 row_mask:0xf bank_mask:0xf// 0000000049F0: 0B2928FA FF015810
	v_mul_f32_dpp v149, v16, v149 row_newbcast:9 row_mask:0xf bank_mask:0xf// 0000000049F8: 0B2B2AFA FF015910
	v_mul_f32_dpp v150, v16, v150 row_newbcast:10 row_mask:0xf bank_mask:0xf// 000000004A00: 0B2D2CFA FF015A10
	v_mul_f32_dpp v151, v16, v151 row_newbcast:11 row_mask:0xf bank_mask:0xf// 000000004A08: 0B2F2EFA FF015B10
	v_lshlrev_b32_e32 v44, 2, v0                               // 000000004A10: 24580082
	s_mul_i32 s60, s82, s71                                    // 000000004A14: 923C4752
	v_add_u32_e64 v80, v44, s60                                // 000000004A18: D1340050 0000792C
	v_mov_b32_e32 v81, 0                                       // 000000004A20: 7EA20280
	s_mul_i32 s60, s83, s71                                    // 000000004A24: 923C4753
	v_add_u32_e64 v82, v44, s60                                // 000000004A28: D1340052 0000792C
	v_mov_b32_e32 v83, 0                                       // 000000004A30: 7EA60280
	s_mul_i32 s60, s84, s71                                    // 000000004A34: 923C4754
	v_add_u32_e64 v84, v44, s60                                // 000000004A38: D1340054 0000792C
	v_mov_b32_e32 v85, 0                                       // 000000004A40: 7EAA0280
	s_mul_i32 s60, s85, s71                                    // 000000004A44: 923C4755
	v_add_u32_e64 v86, v44, s60                                // 000000004A48: D1340056 0000792C
	v_mov_b32_e32 v87, 0                                       // 000000004A50: 7EAE0280
	s_mul_i32 s60, s86, s71                                    // 000000004A54: 923C4756
	v_add_u32_e64 v88, v44, s60                                // 000000004A58: D1340058 0000792C
	v_mov_b32_e32 v89, 0                                       // 000000004A60: 7EB20280
	s_mul_i32 s60, s87, s71                                    // 000000004A64: 923C4757
	v_add_u32_e64 v90, v44, s60                                // 000000004A68: D134005A 0000792C
	v_mov_b32_e32 v91, 0                                       // 000000004A70: 7EB60280
	s_mul_i32 s60, s88, s71                                    // 000000004A74: 923C4758
	v_add_u32_e64 v92, v44, s60                                // 000000004A78: D134005C 0000792C
	v_mov_b32_e32 v93, 0                                       // 000000004A80: 7EBA0280
	s_mul_i32 s60, s89, s71                                    // 000000004A84: 923C4759
	v_add_u32_e64 v94, v44, s60                                // 000000004A88: D134005E 0000792C
	v_mov_b32_e32 v95, 0                                       // 000000004A90: 7EBE0280
	buffer_load_dword v11, v5, s[16:19], 0 offen               // 000000004A94: E0501000 80040B05
	v_mov_b32_e32 v20, 0x358637bd                              // 000000004A9C: 7E2802FF 358637BD
	v_mov_b32_e32 v21, 0x358637bd                              // 000000004AA4: 7E2A02FF 358637BD
	v_max3_f32 v20, |v128|, |v129|, v20                        // 000000004AAC: D1D30314 04530380
	v_max3_f32 v20, |v130|, |v131|, v20                        // 000000004AB4: D1D30314 04530782
	v_max3_f32 v21, |v132|, |v133|, v21                        // 000000004ABC: D1D30315 04570B84
	v_max3_f32 v21, |v134|, |v135|, v21                        // 000000004AC4: D1D30315 04570F86
	v_max3_f32 v20, |v136|, |v137|, v20                        // 000000004ACC: D1D30314 04531388
	v_max3_f32 v20, |v138|, |v139|, v20                        // 000000004AD4: D1D30314 0453178A
	v_max3_f32 v21, |v140|, |v141|, v21                        // 000000004ADC: D1D30315 04571B8C
	v_max3_f32 v21, |v142|, |v143|, v21                        // 000000004AE4: D1D30315 04571F8E
	v_max3_f32 v20, |v144|, |v145|, v20                        // 000000004AEC: D1D30314 04532390
	v_max3_f32 v20, |v146|, |v147|, v20                        // 000000004AF4: D1D30314 04532792
	v_max3_f32 v21, |v148|, |v149|, v21                        // 000000004AFC: D1D30315 04572B94
	v_max3_f32 v21, |v150|, |v151|, v21                        // 000000004B04: D1D30315 04572F96
	v_lshlrev_b32_e32 v44, 3, v0                               // 000000004B0C: 24580083
	s_mul_i32 s60, 0x200, s7                                   // 000000004B10: 923C07FF 00000200
	v_add_u32_e32 v44, s60, v44                                // 000000004B18: 6858583C
	ds_write_b64 v44, v[20:21] offset:16640                    // 000000004B1C: D89A4100 0000142C
	s_waitcnt lgkmcnt(0)                                       // 000000004B24: BF8CC07F
	s_barrier                                                  // 000000004B28: BF8A0000
	v_and_b32_e32 v44, 15, v0                                  // 000000004B2C: 2658008F
	v_lshlrev_b32_e32 v44, 3, v44                              // 000000004B30: 24585883
	ds_read_b64 v[96:97], v44 offset:16640                     // 000000004B34: D8EC4100 6000002C
	ds_read_b64 v[98:99], v44 offset:16768                     // 000000004B3C: D8EC4180 6200002C
	ds_read_b64 v[100:101], v44 offset:16896                   // 000000004B44: D8EC4200 6400002C
	ds_read_b64 v[102:103], v44 offset:17024                   // 000000004B4C: D8EC4280 6600002C
	ds_read_b64 v[104:105], v44 offset:17152                   // 000000004B54: D8EC4300 6800002C
	ds_read_b64 v[106:107], v44 offset:17280                   // 000000004B5C: D8EC4380 6A00002C
	ds_read_b64 v[108:109], v44 offset:17408                   // 000000004B64: D8EC4400 6C00002C
	ds_read_b64 v[110:111], v44 offset:17536                   // 000000004B6C: D8EC4480 6E00002C
	ds_read_b64 v[112:113], v44 offset:17664                   // 000000004B74: D8EC4500 7000002C
	ds_read_b64 v[114:115], v44 offset:17792                   // 000000004B7C: D8EC4580 7200002C
	ds_read_b64 v[116:117], v44 offset:17920                   // 000000004B84: D8EC4600 7400002C
	ds_read_b64 v[118:119], v44 offset:18048                   // 000000004B8C: D8EC4680 7600002C
	ds_read_b64 v[120:121], v44 offset:18176                   // 000000004B94: D8EC4700 7800002C
	ds_read_b64 v[122:123], v44 offset:18304                   // 000000004B9C: D8EC4780 7A00002C
	ds_read_b64 v[124:125], v44 offset:18432                   // 000000004BA4: D8EC4800 7C00002C
	ds_read_b64 v[126:127], v44 offset:18560                   // 000000004BAC: D8EC4880 7E00002C
	s_waitcnt lgkmcnt(0)                                       // 000000004BB4: BF8CC07F
	v_max3_f32 v20, |v96|, |v98|, v20                          // 000000004BB8: D1D30314 0452C560
	v_max3_f32 v21, |v97|, |v99|, v21                          // 000000004BC0: D1D30315 0456C761
	v_max3_f32 v20, |v100|, |v102|, v20                        // 000000004BC8: D1D30314 0452CD64
	v_max3_f32 v21, |v101|, |v103|, v21                        // 000000004BD0: D1D30315 0456CF65
	v_max3_f32 v20, |v104|, |v106|, v20                        // 000000004BD8: D1D30314 0452D568
	v_max3_f32 v21, |v105|, |v107|, v21                        // 000000004BE0: D1D30315 0456D769
	v_max3_f32 v20, |v108|, |v110|, v20                        // 000000004BE8: D1D30314 0452DD6C
	v_max3_f32 v21, |v109|, |v111|, v21                        // 000000004BF0: D1D30315 0456DF6D
	v_max3_f32 v20, |v112|, |v114|, v20                        // 000000004BF8: D1D30314 0452E570
	v_max3_f32 v21, |v113|, |v115|, v21                        // 000000004C00: D1D30315 0456E771
	v_max3_f32 v20, |v116|, |v118|, v20                        // 000000004C08: D1D30314 0452ED74
	v_max3_f32 v21, |v117|, |v119|, v21                        // 000000004C10: D1D30315 0456EF75
	v_max3_f32 v20, |v120|, |v122|, v20                        // 000000004C18: D1D30314 0452F578
	v_max3_f32 v21, |v121|, |v123|, v21                        // 000000004C20: D1D30315 0456F779
	v_max3_f32 v20, |v124|, |v126|, v20                        // 000000004C28: D1D30314 0452FD7C
	v_max3_f32 v21, |v125|, |v127|, v21                        // 000000004C30: D1D30315 0456FF7D
	v_rcp_f32_e32 v20, v20                                     // 000000004C38: 7E284514
	v_rcp_f32_e32 v21, v21                                     // 000000004C3C: 7E2A4515
	v_mul_f32_e32 v20, 0x42fe0000, v20                         // 000000004C40: 0A2828FF 42FE0000
	v_mul_f32_e32 v21, 0x42fe0000, v21                         // 000000004C48: 0A2A2AFF 42FE0000
	v_mul_f32_e32 v128, v20, v128                              // 000000004C50: 0B010114
	v_mul_f32_e32 v129, v20, v129                              // 000000004C54: 0B030314
	v_mul_f32_e32 v130, v20, v130                              // 000000004C58: 0B050514
	v_mul_f32_e32 v131, v20, v131                              // 000000004C5C: 0B070714
	v_cvt_i32_f32_e32 v128, v128                               // 000000004C60: 7F001180
	v_cvt_i32_f32_e32 v129, v129                               // 000000004C64: 7F021181
	v_cvt_i32_f32_e32 v130, v130                               // 000000004C68: 7F041182
	v_cvt_i32_f32_e32 v131, v131                               // 000000004C6C: 7F061183
	v_perm_b32 v128, v129, v128, s53                           // 000000004C70: D1ED0080 00D70181
	v_perm_b32 v128, v130, v128, s54                           // 000000004C78: D1ED0080 00DB0182
	v_perm_b32 v128, v131, v128, s55                           // 000000004C80: D1ED0080 00DF0183
	v_mul_f32_e32 v132, v21, v132                              // 000000004C88: 0B090915
	v_mul_f32_e32 v133, v21, v133                              // 000000004C8C: 0B0B0B15
	v_mul_f32_e32 v134, v21, v134                              // 000000004C90: 0B0D0D15
	v_mul_f32_e32 v135, v21, v135                              // 000000004C94: 0B0F0F15
	v_cvt_i32_f32_e32 v132, v132                               // 000000004C98: 7F081184
	v_cvt_i32_f32_e32 v133, v133                               // 000000004C9C: 7F0A1185
	v_cvt_i32_f32_e32 v134, v134                               // 000000004CA0: 7F0C1186
	v_cvt_i32_f32_e32 v135, v135                               // 000000004CA4: 7F0E1187
	v_perm_b32 v129, v133, v132, s53                           // 000000004CA8: D1ED0081 00D70985
	v_perm_b32 v129, v134, v129, s54                           // 000000004CB0: D1ED0081 00DB0386
	v_perm_b32 v129, v135, v129, s55                           // 000000004CB8: D1ED0081 00DF0387
	v_mul_f32_e32 v136, v20, v136                              // 000000004CC0: 0B111114
	v_mul_f32_e32 v137, v20, v137                              // 000000004CC4: 0B131314
	v_mul_f32_e32 v138, v20, v138                              // 000000004CC8: 0B151514
	v_mul_f32_e32 v139, v20, v139                              // 000000004CCC: 0B171714
	v_cvt_i32_f32_e32 v136, v136                               // 000000004CD0: 7F101188
	v_cvt_i32_f32_e32 v137, v137                               // 000000004CD4: 7F121189
	v_cvt_i32_f32_e32 v138, v138                               // 000000004CD8: 7F14118A
	v_cvt_i32_f32_e32 v139, v139                               // 000000004CDC: 7F16118B
	v_perm_b32 v130, v137, v136, s53                           // 000000004CE0: D1ED0082 00D71189
	v_perm_b32 v130, v138, v130, s54                           // 000000004CE8: D1ED0082 00DB058A
	v_perm_b32 v130, v139, v130, s55                           // 000000004CF0: D1ED0082 00DF058B
	v_mul_f32_e32 v140, v21, v140                              // 000000004CF8: 0B191915
	v_mul_f32_e32 v141, v21, v141                              // 000000004CFC: 0B1B1B15
	v_mul_f32_e32 v142, v21, v142                              // 000000004D00: 0B1D1D15
	v_mul_f32_e32 v143, v21, v143                              // 000000004D04: 0B1F1F15
	v_cvt_i32_f32_e32 v140, v140                               // 000000004D08: 7F18118C
	v_cvt_i32_f32_e32 v141, v141                               // 000000004D0C: 7F1A118D
	v_cvt_i32_f32_e32 v142, v142                               // 000000004D10: 7F1C118E
	v_cvt_i32_f32_e32 v143, v143                               // 000000004D14: 7F1E118F
	v_perm_b32 v131, v141, v140, s53                           // 000000004D18: D1ED0083 00D7198D
	v_perm_b32 v131, v142, v131, s54                           // 000000004D20: D1ED0083 00DB078E
	v_perm_b32 v131, v143, v131, s55                           // 000000004D28: D1ED0083 00DF078F
	v_mul_f32_e32 v144, v20, v144                              // 000000004D30: 0B212114
	v_mul_f32_e32 v145, v20, v145                              // 000000004D34: 0B232314
	v_mul_f32_e32 v146, v20, v146                              // 000000004D38: 0B252514
	v_mul_f32_e32 v147, v20, v147                              // 000000004D3C: 0B272714
	v_cvt_i32_f32_e32 v144, v144                               // 000000004D40: 7F201190
	v_cvt_i32_f32_e32 v145, v145                               // 000000004D44: 7F221191
	v_cvt_i32_f32_e32 v146, v146                               // 000000004D48: 7F241192
	v_cvt_i32_f32_e32 v147, v147                               // 000000004D4C: 7F261193
	v_perm_b32 v132, v145, v144, s53                           // 000000004D50: D1ED0084 00D72191
	v_perm_b32 v132, v146, v132, s54                           // 000000004D58: D1ED0084 00DB0992
	v_perm_b32 v132, v147, v132, s55                           // 000000004D60: D1ED0084 00DF0993
	v_mul_f32_e32 v148, v21, v148                              // 000000004D68: 0B292915
	v_mul_f32_e32 v149, v21, v149                              // 000000004D6C: 0B2B2B15
	v_mul_f32_e32 v150, v21, v150                              // 000000004D70: 0B2D2D15
	v_mul_f32_e32 v151, v21, v151                              // 000000004D74: 0B2F2F15
	v_cvt_i32_f32_e32 v148, v148                               // 000000004D78: 7F281194
	v_cvt_i32_f32_e32 v149, v149                               // 000000004D7C: 7F2A1195
	v_cvt_i32_f32_e32 v150, v150                               // 000000004D80: 7F2C1196
	v_cvt_i32_f32_e32 v151, v151                               // 000000004D84: 7F2E1197
	v_perm_b32 v133, v149, v148, s53                           // 000000004D88: D1ED0085 00D72995
	v_perm_b32 v133, v150, v133, s54                           // 000000004D90: D1ED0085 00DB0B96
	v_perm_b32 v133, v151, v133, s55                           // 000000004D98: D1ED0085 00DF0B97
	v_rcp_f32_e32 v22, v20                                     // 000000004DA0: 7E2C4514
	v_rcp_f32_e32 v23, v21                                     // 000000004DA4: 7E2E4515
	v_lshrrev_b32_e32 v44, 5, v0                               // 000000004DA8: 20580085
	v_lshlrev_b32_e32 v45, 5, v44                              // 000000004DAC: 245A5885
	v_and_b32_e32 v44, 31, v0                                  // 000000004DB0: 2658009F
	v_lshrrev_b32_e32 v46, 4, v44                              // 000000004DB4: 205C5884
	v_add_u32_e32 v45, v46, v45                                // 000000004DB8: 685A5B2E
	v_and_b32_e32 v44, 15, v0                                  // 000000004DBC: 2658008F
	v_lshlrev_b32_e32 v44, 1, v44                              // 000000004DC0: 24585881
	v_add_u32_e32 v45, v44, v45                                // 000000004DC4: 685A5B2C
	v_lshlrev_b32_e32 v44, 2, v45                              // 000000004DC8: 24585A82
	s_mul_i32 s60, 0x100, s7                                   // 000000004DCC: 923C07FF 00000100
	v_add_u32_e64 v44, v44, s60                                // 000000004DD4: D134002C 0000792C
	ds_write_b32 v44, v128 offset:18688                        // 000000004DDC: D81A4900 0000802C
	ds_write_b32 v44, v129 offset:21760                        // 000000004DE4: D81A5500 0000812C
	ds_write_b32 v44, v130 offset:19712                        // 000000004DEC: D81A4D00 0000822C
	ds_write_b32 v44, v131 offset:22784                        // 000000004DF4: D81A5900 0000832C
	ds_write_b32 v44, v132 offset:20736                        // 000000004DFC: D81A5100 0000842C
	ds_write_b32 v44, v133 offset:23808                        // 000000004E04: D81A5D00 0000852C
	s_waitcnt lgkmcnt(0)                                       // 000000004E0C: BF8CC07F
	s_barrier                                                  // 000000004E10: BF8A0000
	v_lshrrev_b32_e32 v44, 4, v0                               // 000000004E14: 20580084
	v_lshlrev_b32_e32 v45, 6, v44                              // 000000004E18: 245A5886
	v_and_b32_e32 v44, 15, v0                                  // 000000004E1C: 2658008F
	v_lshlrev_b32_e32 v44, 1, v44                              // 000000004E20: 24585881
	v_add_u32_e32 v45, v44, v45                                // 000000004E24: 685A5B2C
	v_lshlrev_b32_e32 v44, 2, v45                              // 000000004E28: 24585A82
	ds_read_b64 v[128:129], v44 offset:18688                   // 000000004E2C: D8EC4900 8000002C
	ds_read_b64 v[130:131], v44 offset:18816                   // 000000004E34: D8EC4980 8200002C
	ds_read_b64 v[132:133], v44 offset:19712                   // 000000004E3C: D8EC4D00 8400002C
	ds_read_b64 v[134:135], v44 offset:19840                   // 000000004E44: D8EC4D80 8600002C
	ds_read_b64 v[136:137], v44 offset:20736                   // 000000004E4C: D8EC5100 8800002C
	ds_read_b64 v[138:139], v44 offset:20864                   // 000000004E54: D8EC5180 8A00002C
	ds_read_b64 v[140:141], v44 offset:21760                   // 000000004E5C: D8EC5500 8C00002C
	ds_read_b64 v[142:143], v44 offset:21888                   // 000000004E64: D8EC5580 8E00002C
	ds_read_b64 v[144:145], v44 offset:22784                   // 000000004E6C: D8EC5900 9000002C
	ds_read_b64 v[146:147], v44 offset:22912                   // 000000004E74: D8EC5980 9200002C
	ds_read_b64 v[148:149], v44 offset:23808                   // 000000004E7C: D8EC5D00 9400002C
	ds_read_b64 v[150:151], v44 offset:23936                   // 000000004E84: D8EC5D80 9600002C
	s_add_u32 s12, s56, s12                                    // 000000004E8C: 800C0C38
	s_addc_u32 s13, 0, s13                                     // 000000004E90: 820D0D80
	s_add_u32 s16, s79, s16                                    // 000000004E94: 8010104F
	s_addc_u32 s17, 0, s17                                     // 000000004E98: 82111180
	s_mov_b32 s80, 0                                           // 000000004E9C: BED00080
	s_waitcnt vmcnt(0) expcnt(0) lgkmcnt(0)                    // 000000004EA0: BF8C0000

0000000000004ea4 <label_0829>:
	s_waitcnt vmcnt(25)                                        // 000000004EA4: BF8C4F79
	s_barrier                                                  // 000000004EA8: BF8A0000
	v_mfma_i32_16x16x32_i8 v[152:155], a[0:1], v[128:129], 0   // 000000004EAC: D3D70098 0A030100
	v_mfma_i32_16x16x32_i8 v[152:155], a[2:3], v[130:131], v[152:155]// 000000004EB4: D3D70098 0E630502
	buffer_load_dwordx4 a[48:51], v35, s[12:15], 0 offen       // 000000004EBC: E05C1000 80833023
	v_mfma_i32_16x16x32_i8 v[156:159], a[0:1], v[140:141], 0   // 000000004EC4: D3D7009C 0A031900
	v_mfma_i32_16x16x32_i8 v[156:159], a[2:3], v[142:143], v[156:159]// 000000004ECC: D3D7009C 0E731D02
	v_mfma_i32_16x16x32_i8 v[160:163], a[4:5], v[128:129], 0   // 000000004ED4: D3D700A0 0A030104
	v_mfma_i32_16x16x32_i8 v[160:163], a[6:7], v[130:131], v[160:163]// 000000004EDC: D3D700A0 0E830506
	buffer_load_dwordx4 a[52:55], v36, s[12:15], 0 offen       // 000000004EE4: E05C1000 80833424
	v_mfma_i32_16x16x32_i8 v[164:167], a[4:5], v[140:141], 0   // 000000004EEC: D3D700A4 0A031904
	v_mfma_i32_16x16x32_i8 v[164:167], a[6:7], v[142:143], v[164:167]// 000000004EF4: D3D700A4 0E931D06
	v_mfma_i32_16x16x32_i8 v[168:171], a[8:9], v[128:129], 0   // 000000004EFC: D3D700A8 0A030108
	v_mfma_i32_16x16x32_i8 v[168:171], a[10:11], v[130:131], v[168:171]// 000000004F04: D3D700A8 0EA3050A
	buffer_load_dwordx4 a[56:59], v37, s[12:15], 0 offen       // 000000004F0C: E05C1000 80833825
	v_mfma_i32_16x16x32_i8 v[172:175], a[8:9], v[140:141], 0   // 000000004F14: D3D700AC 0A031908
	v_mfma_i32_16x16x32_i8 v[172:175], a[10:11], v[142:143], v[172:175]// 000000004F1C: D3D700AC 0EB31D0A
	v_mfma_i32_16x16x32_i8 v[176:179], a[12:13], v[128:129], 0 // 000000004F24: D3D700B0 0A03010C
	v_mfma_i32_16x16x32_i8 v[176:179], a[14:15], v[130:131], v[176:179]// 000000004F2C: D3D700B0 0EC3050E
	buffer_load_dwordx4 a[60:63], v38, s[12:15], 0 offen       // 000000004F34: E05C1000 80833C26
	s_add_u32 s12, s78, s12                                    // 000000004F3C: 800C0C4E
	s_addc_u32 s13, 0, s13                                     // 000000004F40: 820D0D80
	v_mfma_i32_16x16x32_i8 v[180:183], a[12:13], v[140:141], 0 // 000000004F44: D3D700B4 0A03190C
	v_mfma_i32_16x16x32_i8 v[180:183], a[14:15], v[142:143], v[180:183]// 000000004F4C: D3D700B4 0ED31D0E
	s_waitcnt vmcnt(25)                                        // 000000004F54: BF8C4F79
	v_mfma_i32_16x16x32_i8 v[152:155], a[16:17], v[132:133], v[152:155]// 000000004F58: D3D70098 0E630910
	v_mfma_i32_16x16x32_i8 v[152:155], a[18:19], v[134:135], v[152:155]// 000000004F60: D3D70098 0E630D12
	buffer_load_dwordx4 a[64:67], v35, s[12:15], 0 offen       // 000000004F68: E05C1000 80834023
	v_mfma_i32_16x16x32_i8 v[156:159], a[16:17], v[144:145], v[156:159]// 000000004F70: D3D7009C 0E732110
	v_mfma_i32_16x16x32_i8 v[156:159], a[18:19], v[146:147], v[156:159]// 000000004F78: D3D7009C 0E732512
	v_mfma_i32_16x16x32_i8 v[160:163], a[20:21], v[132:133], v[160:163]// 000000004F80: D3D700A0 0E830914
	v_mfma_i32_16x16x32_i8 v[160:163], a[22:23], v[134:135], v[160:163]// 000000004F88: D3D700A0 0E830D16
	buffer_load_dwordx4 a[68:71], v36, s[12:15], 0 offen       // 000000004F90: E05C1000 80834424
	v_mfma_i32_16x16x32_i8 v[164:167], a[20:21], v[144:145], v[164:167]// 000000004F98: D3D700A4 0E932114
	v_mfma_i32_16x16x32_i8 v[164:167], a[22:23], v[146:147], v[164:167]// 000000004FA0: D3D700A4 0E932516
	v_mfma_i32_16x16x32_i8 v[168:171], a[24:25], v[132:133], v[168:171]// 000000004FA8: D3D700A8 0EA30918
	v_mfma_i32_16x16x32_i8 v[168:171], a[26:27], v[134:135], v[168:171]// 000000004FB0: D3D700A8 0EA30D1A
	buffer_load_dwordx4 a[72:75], v37, s[12:15], 0 offen       // 000000004FB8: E05C1000 80834825
	v_mfma_i32_16x16x32_i8 v[172:175], a[24:25], v[144:145], v[172:175]// 000000004FC0: D3D700AC 0EB32118
	v_mfma_i32_16x16x32_i8 v[172:175], a[26:27], v[146:147], v[172:175]// 000000004FC8: D3D700AC 0EB3251A
	v_mfma_i32_16x16x32_i8 v[176:179], a[28:29], v[132:133], v[176:179]// 000000004FD0: D3D700B0 0EC3091C
	v_mfma_i32_16x16x32_i8 v[176:179], a[30:31], v[134:135], v[176:179]// 000000004FD8: D3D700B0 0EC30D1E
	buffer_load_dwordx4 a[76:79], v38, s[12:15], 0 offen       // 000000004FE0: E05C1000 80834C26
	s_add_u32 s12, s78, s12                                    // 000000004FE8: 800C0C4E
	s_addc_u32 s13, 0, s13                                     // 000000004FEC: 820D0D80
	v_mfma_i32_16x16x32_i8 v[180:183], a[28:29], v[144:145], v[180:183]// 000000004FF0: D3D700B4 0ED3211C
	v_mfma_i32_16x16x32_i8 v[180:183], a[30:31], v[146:147], v[180:183]// 000000004FF8: D3D700B4 0ED3251E
	s_waitcnt vmcnt(24)                                        // 000000005000: BF8C4F78
	v_mfma_i32_16x16x32_i8 v[152:155], a[32:33], v[136:137], v[152:155]// 000000005004: D3D70098 0E631120
	v_mfma_i32_16x16x32_i8 v[152:155], a[34:35], v[138:139], v[152:155]// 00000000500C: D3D70098 0E631522
	buffer_load_dwordx4 a[80:83], v35, s[12:15], 0 offen       // 000000005014: E05C1000 80835023
	v_mfma_i32_16x16x32_i8 v[156:159], a[32:33], v[148:149], v[156:159]// 00000000501C: D3D7009C 0E732920
	v_mfma_i32_16x16x32_i8 v[156:159], a[34:35], v[150:151], v[156:159]// 000000005024: D3D7009C 0E732D22
	buffer_load_dword v12, v5, s[16:19], 0 offen               // 00000000502C: E0501000 80040C05
	v_mfma_i32_16x16x32_i8 v[160:163], a[36:37], v[136:137], v[160:163]// 000000005034: D3D700A0 0E831124
	v_mfma_i32_16x16x32_i8 v[160:163], a[38:39], v[138:139], v[160:163]// 00000000503C: D3D700A0 0E831526
	buffer_load_dwordx4 a[84:87], v36, s[12:15], 0 offen       // 000000005044: E05C1000 80835424
	v_mfma_i32_16x16x32_i8 v[164:167], a[36:37], v[148:149], v[164:167]// 00000000504C: D3D700A4 0E932924
	v_mfma_i32_16x16x32_i8 v[164:167], a[38:39], v[150:151], v[164:167]// 000000005054: D3D700A4 0E932D26
	v_mfma_i32_16x16x32_i8 v[168:171], a[40:41], v[136:137], v[168:171]// 00000000505C: D3D700A8 0EA31128
	v_mfma_i32_16x16x32_i8 v[168:171], a[42:43], v[138:139], v[168:171]// 000000005064: D3D700A8 0EA3152A
	buffer_load_dwordx4 a[88:91], v37, s[12:15], 0 offen       // 00000000506C: E05C1000 80835825
	v_mfma_i32_16x16x32_i8 v[172:175], a[40:41], v[148:149], v[172:175]// 000000005074: D3D700AC 0EB32928
	v_mfma_i32_16x16x32_i8 v[172:175], a[42:43], v[150:151], v[172:175]// 00000000507C: D3D700AC 0EB32D2A
	v_mfma_i32_16x16x32_i8 v[176:179], a[44:45], v[136:137], v[176:179]// 000000005084: D3D700B0 0EC3112C
	v_mfma_i32_16x16x32_i8 v[176:179], a[46:47], v[138:139], v[176:179]// 00000000508C: D3D700B0 0EC3152E
	buffer_load_dwordx4 a[92:95], v38, s[12:15], 0 offen       // 000000005094: E05C1000 80835C26
	v_mfma_i32_16x16x32_i8 v[180:183], a[44:45], v[148:149], v[180:183]// 00000000509C: D3D700B4 0ED3292C
	v_mfma_i32_16x16x32_i8 v[180:183], a[46:47], v[150:151], v[180:183]// 0000000050A4: D3D700B4 0ED32D2E
	s_add_u32 s60, 0x200, s80                                  // 0000000050AC: 803C50FF 00000200
	s_cmp_lt_u32 s60, s81                                      // 0000000050B4: BF0A513C
	s_cselect_b32 s56, s56, 0                                  // 0000000050B8: 85388038
	s_cselect_b32 s78, s78, 0                                  // 0000000050BC: 854E804E
	s_cselect_b32 s79, s79, 0                                  // 0000000050C0: 854F804F
	s_add_u32 s12, s56, s12                                    // 0000000050C4: 800C0C38
	s_addc_u32 s13, 0, s13                                     // 0000000050C8: 820D0D80
	s_add_u32 s16, s79, s16                                    // 0000000050CC: 8010104F
	s_addc_u32 s17, 0, s17                                     // 0000000050D0: 82111180
	v_cvt_f32_i32_e32 v152, v152                               // 0000000050D4: 7F300B98
	v_cvt_f32_i32_e32 v153, v153                               // 0000000050D8: 7F320B99
	v_cvt_f32_i32_e32 v154, v154                               // 0000000050DC: 7F340B9A
	v_cvt_f32_i32_e32 v155, v155                               // 0000000050E0: 7F360B9B
	v_mul_f32_e32 v152, v22, v152                              // 0000000050E4: 0B313116
	v_mul_f32_e32 v153, v22, v153                              // 0000000050E8: 0B333316
	v_mul_f32_e32 v154, v22, v154                              // 0000000050EC: 0B353516
	v_mul_f32_e32 v155, v22, v155                              // 0000000050F0: 0B373716
	v_mul_f32_dpp v152, v11, v152 row_newbcast:0 row_mask:0xf bank_mask:0xf// 0000000050F4: 0B3130FA FF01500B
	v_mul_f32_dpp v153, v11, v153 row_newbcast:1 row_mask:0xf bank_mask:0xf// 0000000050FC: 0B3332FA FF01510B
	v_mul_f32_dpp v154, v11, v154 row_newbcast:2 row_mask:0xf bank_mask:0xf// 000000005104: 0B3534FA FF01520B
	v_mul_f32_dpp v155, v11, v155 row_newbcast:3 row_mask:0xf bank_mask:0xf// 00000000510C: 0B3736FA FF01530B
	v_mul_f32_e32 v152, v17, v152                              // 000000005114: 0B313111
	v_mul_f32_e32 v153, v17, v153                              // 000000005118: 0B333311
	v_mul_f32_e32 v154, v17, v154                              // 00000000511C: 0B353511
	v_mul_f32_e32 v155, v17, v155                              // 000000005120: 0B373711
	v_cvt_f32_i32_e32 v156, v156                               // 000000005124: 7F380B9C
	v_cvt_f32_i32_e32 v157, v157                               // 000000005128: 7F3A0B9D
	v_cvt_f32_i32_e32 v158, v158                               // 00000000512C: 7F3C0B9E
	v_cvt_f32_i32_e32 v159, v159                               // 000000005130: 7F3E0B9F
	v_mul_f32_e32 v156, v23, v156                              // 000000005134: 0B393917
	v_mul_f32_e32 v157, v23, v157                              // 000000005138: 0B3B3B17
	v_mul_f32_e32 v158, v23, v158                              // 00000000513C: 0B3D3D17
	v_mul_f32_e32 v159, v23, v159                              // 000000005140: 0B3F3F17
	v_mul_f32_dpp v156, v11, v156 row_newbcast:0 row_mask:0xf bank_mask:0xf// 000000005144: 0B3938FA FF01500B
	v_mul_f32_dpp v157, v11, v157 row_newbcast:1 row_mask:0xf bank_mask:0xf// 00000000514C: 0B3B3AFA FF01510B
	v_mul_f32_dpp v158, v11, v158 row_newbcast:2 row_mask:0xf bank_mask:0xf// 000000005154: 0B3D3CFA FF01520B
	v_mul_f32_dpp v159, v11, v159 row_newbcast:3 row_mask:0xf bank_mask:0xf// 00000000515C: 0B3F3EFA FF01530B
	v_mul_f32_e32 v156, v18, v156                              // 000000005164: 0B393912
	v_mul_f32_e32 v157, v18, v157                              // 000000005168: 0B3B3B12
	v_mul_f32_e32 v158, v18, v158                              // 00000000516C: 0B3D3D12
	v_mul_f32_e32 v159, v18, v159                              // 000000005170: 0B3F3F12
	v_cvt_f32_i32_e32 v160, v160                               // 000000005174: 7F400BA0
	v_cvt_f32_i32_e32 v161, v161                               // 000000005178: 7F420BA1
	v_cvt_f32_i32_e32 v162, v162                               // 00000000517C: 7F440BA2
	v_cvt_f32_i32_e32 v163, v163                               // 000000005180: 7F460BA3
	v_mul_f32_e32 v160, v22, v160                              // 000000005184: 0B414116
	v_mul_f32_e32 v161, v22, v161                              // 000000005188: 0B434316
	v_mul_f32_e32 v162, v22, v162                              // 00000000518C: 0B454516
	v_mul_f32_e32 v163, v22, v163                              // 000000005190: 0B474716
	v_mul_f32_dpp v160, v11, v160 row_newbcast:4 row_mask:0xf bank_mask:0xf// 000000005194: 0B4140FA FF01540B
	v_mul_f32_dpp v161, v11, v161 row_newbcast:5 row_mask:0xf bank_mask:0xf// 00000000519C: 0B4342FA FF01550B
	v_mul_f32_dpp v162, v11, v162 row_newbcast:6 row_mask:0xf bank_mask:0xf// 0000000051A4: 0B4544FA FF01560B
	v_mul_f32_dpp v163, v11, v163 row_newbcast:7 row_mask:0xf bank_mask:0xf// 0000000051AC: 0B4746FA FF01570B
	v_mul_f32_e32 v160, v17, v160                              // 0000000051B4: 0B414111
	v_mul_f32_e32 v161, v17, v161                              // 0000000051B8: 0B434311
	v_mul_f32_e32 v162, v17, v162                              // 0000000051BC: 0B454511
	v_mul_f32_e32 v163, v17, v163                              // 0000000051C0: 0B474711
	v_cvt_f32_i32_e32 v164, v164                               // 0000000051C4: 7F480BA4
	v_cvt_f32_i32_e32 v165, v165                               // 0000000051C8: 7F4A0BA5
	v_cvt_f32_i32_e32 v166, v166                               // 0000000051CC: 7F4C0BA6
	v_cvt_f32_i32_e32 v167, v167                               // 0000000051D0: 7F4E0BA7
	v_mul_f32_e32 v164, v23, v164                              // 0000000051D4: 0B494917
	v_mul_f32_e32 v165, v23, v165                              // 0000000051D8: 0B4B4B17
	v_mul_f32_e32 v166, v23, v166                              // 0000000051DC: 0B4D4D17
	v_mul_f32_e32 v167, v23, v167                              // 0000000051E0: 0B4F4F17
	v_mul_f32_dpp v164, v11, v164 row_newbcast:4 row_mask:0xf bank_mask:0xf// 0000000051E4: 0B4948FA FF01540B
	v_mul_f32_dpp v165, v11, v165 row_newbcast:5 row_mask:0xf bank_mask:0xf// 0000000051EC: 0B4B4AFA FF01550B
	v_mul_f32_dpp v166, v11, v166 row_newbcast:6 row_mask:0xf bank_mask:0xf// 0000000051F4: 0B4D4CFA FF01560B
	v_mul_f32_dpp v167, v11, v167 row_newbcast:7 row_mask:0xf bank_mask:0xf// 0000000051FC: 0B4F4EFA FF01570B
	v_mul_f32_e32 v164, v18, v164                              // 000000005204: 0B494912
	v_mul_f32_e32 v165, v18, v165                              // 000000005208: 0B4B4B12
	v_mul_f32_e32 v166, v18, v166                              // 00000000520C: 0B4D4D12
	v_mul_f32_e32 v167, v18, v167                              // 000000005210: 0B4F4F12
	v_cvt_f32_i32_e32 v168, v168                               // 000000005214: 7F500BA8
	v_cvt_f32_i32_e32 v169, v169                               // 000000005218: 7F520BA9
	v_cvt_f32_i32_e32 v170, v170                               // 00000000521C: 7F540BAA
	v_cvt_f32_i32_e32 v171, v171                               // 000000005220: 7F560BAB
	v_mul_f32_e32 v168, v22, v168                              // 000000005224: 0B515116
	v_mul_f32_e32 v169, v22, v169                              // 000000005228: 0B535316
	v_mul_f32_e32 v170, v22, v170                              // 00000000522C: 0B555516
	v_mul_f32_e32 v171, v22, v171                              // 000000005230: 0B575716
	v_mul_f32_dpp v168, v11, v168 row_newbcast:8 row_mask:0xf bank_mask:0xf// 000000005234: 0B5150FA FF01580B
	v_mul_f32_dpp v169, v11, v169 row_newbcast:9 row_mask:0xf bank_mask:0xf// 00000000523C: 0B5352FA FF01590B
	v_mul_f32_dpp v170, v11, v170 row_newbcast:10 row_mask:0xf bank_mask:0xf// 000000005244: 0B5554FA FF015A0B
	v_mul_f32_dpp v171, v11, v171 row_newbcast:11 row_mask:0xf bank_mask:0xf// 00000000524C: 0B5756FA FF015B0B
	v_mul_f32_e32 v168, v17, v168                              // 000000005254: 0B515111
	v_mul_f32_e32 v169, v17, v169                              // 000000005258: 0B535311
	v_mul_f32_e32 v170, v17, v170                              // 00000000525C: 0B555511
	v_mul_f32_e32 v171, v17, v171                              // 000000005260: 0B575711
	v_cvt_f32_i32_e32 v172, v172                               // 000000005264: 7F580BAC
	v_cvt_f32_i32_e32 v173, v173                               // 000000005268: 7F5A0BAD
	v_cvt_f32_i32_e32 v174, v174                               // 00000000526C: 7F5C0BAE
	v_cvt_f32_i32_e32 v175, v175                               // 000000005270: 7F5E0BAF
	v_mul_f32_e32 v172, v23, v172                              // 000000005274: 0B595917
	v_mul_f32_e32 v173, v23, v173                              // 000000005278: 0B5B5B17
	v_mul_f32_e32 v174, v23, v174                              // 00000000527C: 0B5D5D17
	v_mul_f32_e32 v175, v23, v175                              // 000000005280: 0B5F5F17
	v_mul_f32_dpp v172, v11, v172 row_newbcast:8 row_mask:0xf bank_mask:0xf// 000000005284: 0B5958FA FF01580B
	v_mul_f32_dpp v173, v11, v173 row_newbcast:9 row_mask:0xf bank_mask:0xf// 00000000528C: 0B5B5AFA FF01590B
	v_mul_f32_dpp v174, v11, v174 row_newbcast:10 row_mask:0xf bank_mask:0xf// 000000005294: 0B5D5CFA FF015A0B
	v_mul_f32_dpp v175, v11, v175 row_newbcast:11 row_mask:0xf bank_mask:0xf// 00000000529C: 0B5F5EFA FF015B0B
	v_mul_f32_e32 v172, v18, v172                              // 0000000052A4: 0B595912
	v_mul_f32_e32 v173, v18, v173                              // 0000000052A8: 0B5B5B12
	v_mul_f32_e32 v174, v18, v174                              // 0000000052AC: 0B5D5D12
	v_mul_f32_e32 v175, v18, v175                              // 0000000052B0: 0B5F5F12
	v_cvt_f32_i32_e32 v176, v176                               // 0000000052B4: 7F600BB0
	v_cvt_f32_i32_e32 v177, v177                               // 0000000052B8: 7F620BB1
	v_cvt_f32_i32_e32 v178, v178                               // 0000000052BC: 7F640BB2
	v_cvt_f32_i32_e32 v179, v179                               // 0000000052C0: 7F660BB3
	v_mul_f32_e32 v176, v22, v176                              // 0000000052C4: 0B616116
	v_mul_f32_e32 v177, v22, v177                              // 0000000052C8: 0B636316
	v_mul_f32_e32 v178, v22, v178                              // 0000000052CC: 0B656516
	v_mul_f32_e32 v179, v22, v179                              // 0000000052D0: 0B676716
	v_mul_f32_dpp v176, v11, v176 row_newbcast:12 row_mask:0xf bank_mask:0xf// 0000000052D4: 0B6160FA FF015C0B
	v_mul_f32_dpp v177, v11, v177 row_newbcast:13 row_mask:0xf bank_mask:0xf// 0000000052DC: 0B6362FA FF015D0B
	v_mul_f32_dpp v178, v11, v178 row_newbcast:14 row_mask:0xf bank_mask:0xf// 0000000052E4: 0B6564FA FF015E0B
	v_mul_f32_dpp v179, v11, v179 row_newbcast:15 row_mask:0xf bank_mask:0xf// 0000000052EC: 0B6766FA FF015F0B
	v_mul_f32_e32 v176, v17, v176                              // 0000000052F4: 0B616111
	v_mul_f32_e32 v177, v17, v177                              // 0000000052F8: 0B636311
	v_mul_f32_e32 v178, v17, v178                              // 0000000052FC: 0B656511
	v_mul_f32_e32 v179, v17, v179                              // 000000005300: 0B676711
	v_cvt_f32_i32_e32 v180, v180                               // 000000005304: 7F680BB4
	v_cvt_f32_i32_e32 v181, v181                               // 000000005308: 7F6A0BB5
	v_cvt_f32_i32_e32 v182, v182                               // 00000000530C: 7F6C0BB6
	v_cvt_f32_i32_e32 v183, v183                               // 000000005310: 7F6E0BB7
	v_mul_f32_e32 v180, v23, v180                              // 000000005314: 0B696917
	v_mul_f32_e32 v181, v23, v181                              // 000000005318: 0B6B6B17
	v_mul_f32_e32 v182, v23, v182                              // 00000000531C: 0B6D6D17
	v_mul_f32_e32 v183, v23, v183                              // 000000005320: 0B6F6F17
	v_mul_f32_dpp v180, v11, v180 row_newbcast:12 row_mask:0xf bank_mask:0xf// 000000005324: 0B6968FA FF015C0B
	v_mul_f32_dpp v181, v11, v181 row_newbcast:13 row_mask:0xf bank_mask:0xf// 00000000532C: 0B6B6AFA FF015D0B
	v_mul_f32_dpp v182, v11, v182 row_newbcast:14 row_mask:0xf bank_mask:0xf// 000000005334: 0B6D6CFA FF015E0B
	v_mul_f32_dpp v183, v11, v183 row_newbcast:15 row_mask:0xf bank_mask:0xf// 00000000533C: 0B6F6EFA FF015F0B
	v_mul_f32_e32 v180, v18, v180                              // 000000005344: 0B696912
	v_mul_f32_e32 v181, v18, v181                              // 000000005348: 0B6B6B12
	v_mul_f32_e32 v182, v18, v182                              // 00000000534C: 0B6D6D12
	v_mul_f32_e32 v183, v18, v183                              // 000000005350: 0B6F6F12
	v_cmp_u_f32_e64 s[48:49], v152, v152                       // 000000005354: D0480030 00033198
	v_add3_u32 v39, v152, v42, 1                               // 00000000535C: D1FF0027 02065598
	v_cndmask_b32_e64 v44, v39, v41, s[48:49]                  // 000000005364: D100002C 00C25327
	v_cmp_u_f32_e64 s[48:49], v153, v153                       // 00000000536C: D0480030 00033399
	v_add3_u32 v39, v153, v42, 1                               // 000000005374: D1FF0027 02065599
	v_cndmask_b32_e64 v45, v39, v41, s[48:49]                  // 00000000537C: D100002D 00C25327
	v_perm_b32 v152, v45, v44, s52                             // 000000005384: D1ED0098 00D2592D
	v_cmp_u_f32_e64 s[48:49], v154, v154                       // 00000000538C: D0480030 0003359A
	v_add3_u32 v39, v154, v42, 1                               // 000000005394: D1FF0027 0206559A
	v_cndmask_b32_e64 v44, v39, v41, s[48:49]                  // 00000000539C: D100002C 00C25327
	v_cmp_u_f32_e64 s[48:49], v155, v155                       // 0000000053A4: D0480030 0003379B
	v_add3_u32 v39, v155, v42, 1                               // 0000000053AC: D1FF0027 0206559B
	v_cndmask_b32_e64 v45, v39, v41, s[48:49]                  // 0000000053B4: D100002D 00C25327
	v_perm_b32 v153, v45, v44, s52                             // 0000000053BC: D1ED0099 00D2592D
	v_cmp_u_f32_e64 s[48:49], v156, v156                       // 0000000053C4: D0480030 0003399C
	v_add3_u32 v39, v156, v42, 1                               // 0000000053CC: D1FF0027 0206559C
	v_cndmask_b32_e64 v44, v39, v41, s[48:49]                  // 0000000053D4: D100002C 00C25327
	v_cmp_u_f32_e64 s[48:49], v157, v157                       // 0000000053DC: D0480030 00033B9D
	v_add3_u32 v39, v157, v42, 1                               // 0000000053E4: D1FF0027 0206559D
	v_cndmask_b32_e64 v45, v39, v41, s[48:49]                  // 0000000053EC: D100002D 00C25327
	v_perm_b32 v154, v45, v44, s52                             // 0000000053F4: D1ED009A 00D2592D
	v_cmp_u_f32_e64 s[48:49], v158, v158                       // 0000000053FC: D0480030 00033D9E
	v_add3_u32 v39, v158, v42, 1                               // 000000005404: D1FF0027 0206559E
	v_cndmask_b32_e64 v44, v39, v41, s[48:49]                  // 00000000540C: D100002C 00C25327
	v_cmp_u_f32_e64 s[48:49], v159, v159                       // 000000005414: D0480030 00033F9F
	v_add3_u32 v39, v159, v42, 1                               // 00000000541C: D1FF0027 0206559F
	v_cndmask_b32_e64 v45, v39, v41, s[48:49]                  // 000000005424: D100002D 00C25327
	v_perm_b32 v155, v45, v44, s52                             // 00000000542C: D1ED009B 00D2592D
	v_cmp_u_f32_e64 s[48:49], v160, v160                       // 000000005434: D0480030 000341A0
	v_add3_u32 v39, v160, v42, 1                               // 00000000543C: D1FF0027 020655A0
	v_cndmask_b32_e64 v44, v39, v41, s[48:49]                  // 000000005444: D100002C 00C25327
	v_cmp_u_f32_e64 s[48:49], v161, v161                       // 00000000544C: D0480030 000343A1
	v_add3_u32 v39, v161, v42, 1                               // 000000005454: D1FF0027 020655A1
	v_cndmask_b32_e64 v45, v39, v41, s[48:49]                  // 00000000545C: D100002D 00C25327
	v_perm_b32 v156, v45, v44, s52                             // 000000005464: D1ED009C 00D2592D
	v_cmp_u_f32_e64 s[48:49], v162, v162                       // 00000000546C: D0480030 000345A2
	v_add3_u32 v39, v162, v42, 1                               // 000000005474: D1FF0027 020655A2
	v_cndmask_b32_e64 v44, v39, v41, s[48:49]                  // 00000000547C: D100002C 00C25327
	v_cmp_u_f32_e64 s[48:49], v163, v163                       // 000000005484: D0480030 000347A3
	v_add3_u32 v39, v163, v42, 1                               // 00000000548C: D1FF0027 020655A3
	v_cndmask_b32_e64 v45, v39, v41, s[48:49]                  // 000000005494: D100002D 00C25327
	v_perm_b32 v157, v45, v44, s52                             // 00000000549C: D1ED009D 00D2592D
	v_cmp_u_f32_e64 s[48:49], v164, v164                       // 0000000054A4: D0480030 000349A4
	v_add3_u32 v39, v164, v42, 1                               // 0000000054AC: D1FF0027 020655A4
	v_cndmask_b32_e64 v44, v39, v41, s[48:49]                  // 0000000054B4: D100002C 00C25327
	v_cmp_u_f32_e64 s[48:49], v165, v165                       // 0000000054BC: D0480030 00034BA5
	v_add3_u32 v39, v165, v42, 1                               // 0000000054C4: D1FF0027 020655A5
	v_cndmask_b32_e64 v45, v39, v41, s[48:49]                  // 0000000054CC: D100002D 00C25327
	v_perm_b32 v158, v45, v44, s52                             // 0000000054D4: D1ED009E 00D2592D
	v_cmp_u_f32_e64 s[48:49], v166, v166                       // 0000000054DC: D0480030 00034DA6
	v_add3_u32 v39, v166, v42, 1                               // 0000000054E4: D1FF0027 020655A6
	v_cndmask_b32_e64 v44, v39, v41, s[48:49]                  // 0000000054EC: D100002C 00C25327
	v_cmp_u_f32_e64 s[48:49], v167, v167                       // 0000000054F4: D0480030 00034FA7
	v_add3_u32 v39, v167, v42, 1                               // 0000000054FC: D1FF0027 020655A7
	v_cndmask_b32_e64 v45, v39, v41, s[48:49]                  // 000000005504: D100002D 00C25327
	v_perm_b32 v159, v45, v44, s52                             // 00000000550C: D1ED009F 00D2592D
	v_cmp_u_f32_e64 s[48:49], v168, v168                       // 000000005514: D0480030 000351A8
	v_add3_u32 v39, v168, v42, 1                               // 00000000551C: D1FF0027 020655A8
	v_cndmask_b32_e64 v44, v39, v41, s[48:49]                  // 000000005524: D100002C 00C25327
	v_cmp_u_f32_e64 s[48:49], v169, v169                       // 00000000552C: D0480030 000353A9
	v_add3_u32 v39, v169, v42, 1                               // 000000005534: D1FF0027 020655A9
	v_cndmask_b32_e64 v45, v39, v41, s[48:49]                  // 00000000553C: D100002D 00C25327
	v_perm_b32 v160, v45, v44, s52                             // 000000005544: D1ED00A0 00D2592D
	v_cmp_u_f32_e64 s[48:49], v170, v170                       // 00000000554C: D0480030 000355AA
	v_add3_u32 v39, v170, v42, 1                               // 000000005554: D1FF0027 020655AA
	v_cndmask_b32_e64 v44, v39, v41, s[48:49]                  // 00000000555C: D100002C 00C25327
	v_cmp_u_f32_e64 s[48:49], v171, v171                       // 000000005564: D0480030 000357AB
	v_add3_u32 v39, v171, v42, 1                               // 00000000556C: D1FF0027 020655AB
	v_cndmask_b32_e64 v45, v39, v41, s[48:49]                  // 000000005574: D100002D 00C25327
	v_perm_b32 v161, v45, v44, s52                             // 00000000557C: D1ED00A1 00D2592D
	v_cmp_u_f32_e64 s[48:49], v172, v172                       // 000000005584: D0480030 000359AC
	v_add3_u32 v39, v172, v42, 1                               // 00000000558C: D1FF0027 020655AC
	v_cndmask_b32_e64 v44, v39, v41, s[48:49]                  // 000000005594: D100002C 00C25327
	v_cmp_u_f32_e64 s[48:49], v173, v173                       // 00000000559C: D0480030 00035BAD
	v_add3_u32 v39, v173, v42, 1                               // 0000000055A4: D1FF0027 020655AD
	v_cndmask_b32_e64 v45, v39, v41, s[48:49]                  // 0000000055AC: D100002D 00C25327
	v_perm_b32 v162, v45, v44, s52                             // 0000000055B4: D1ED00A2 00D2592D
	v_cmp_u_f32_e64 s[48:49], v174, v174                       // 0000000055BC: D0480030 00035DAE
	v_add3_u32 v39, v174, v42, 1                               // 0000000055C4: D1FF0027 020655AE
	v_cndmask_b32_e64 v44, v39, v41, s[48:49]                  // 0000000055CC: D100002C 00C25327
	v_cmp_u_f32_e64 s[48:49], v175, v175                       // 0000000055D4: D0480030 00035FAF
	v_add3_u32 v39, v175, v42, 1                               // 0000000055DC: D1FF0027 020655AF
	v_cndmask_b32_e64 v45, v39, v41, s[48:49]                  // 0000000055E4: D100002D 00C25327
	v_perm_b32 v163, v45, v44, s52                             // 0000000055EC: D1ED00A3 00D2592D
	v_cmp_u_f32_e64 s[48:49], v176, v176                       // 0000000055F4: D0480030 000361B0
	v_add3_u32 v39, v176, v42, 1                               // 0000000055FC: D1FF0027 020655B0
	v_cndmask_b32_e64 v44, v39, v41, s[48:49]                  // 000000005604: D100002C 00C25327
	v_cmp_u_f32_e64 s[48:49], v177, v177                       // 00000000560C: D0480030 000363B1
	v_add3_u32 v39, v177, v42, 1                               // 000000005614: D1FF0027 020655B1
	v_cndmask_b32_e64 v45, v39, v41, s[48:49]                  // 00000000561C: D100002D 00C25327
	v_perm_b32 v164, v45, v44, s52                             // 000000005624: D1ED00A4 00D2592D
	v_cmp_u_f32_e64 s[48:49], v178, v178                       // 00000000562C: D0480030 000365B2
	v_add3_u32 v39, v178, v42, 1                               // 000000005634: D1FF0027 020655B2
	v_cndmask_b32_e64 v44, v39, v41, s[48:49]                  // 00000000563C: D100002C 00C25327
	v_cmp_u_f32_e64 s[48:49], v179, v179                       // 000000005644: D0480030 000367B3
	v_add3_u32 v39, v179, v42, 1                               // 00000000564C: D1FF0027 020655B3
	v_cndmask_b32_e64 v45, v39, v41, s[48:49]                  // 000000005654: D100002D 00C25327
	v_perm_b32 v165, v45, v44, s52                             // 00000000565C: D1ED00A5 00D2592D
	v_cmp_u_f32_e64 s[48:49], v180, v180                       // 000000005664: D0480030 000369B4
	v_add3_u32 v39, v180, v42, 1                               // 00000000566C: D1FF0027 020655B4
	v_cndmask_b32_e64 v44, v39, v41, s[48:49]                  // 000000005674: D100002C 00C25327
	v_cmp_u_f32_e64 s[48:49], v181, v181                       // 00000000567C: D0480030 00036BB5
	v_add3_u32 v39, v181, v42, 1                               // 000000005684: D1FF0027 020655B5
	v_cndmask_b32_e64 v45, v39, v41, s[48:49]                  // 00000000568C: D100002D 00C25327
	v_perm_b32 v166, v45, v44, s52                             // 000000005694: D1ED00A6 00D2592D
	v_cmp_u_f32_e64 s[48:49], v182, v182                       // 00000000569C: D0480030 00036DB6
	v_add3_u32 v39, v182, v42, 1                               // 0000000056A4: D1FF0027 020655B6
	v_cndmask_b32_e64 v44, v39, v41, s[48:49]                  // 0000000056AC: D100002C 00C25327
	v_cmp_u_f32_e64 s[48:49], v183, v183                       // 0000000056B4: D0480030 00036FB7
	v_add3_u32 v39, v183, v42, 1                               // 0000000056BC: D1FF0027 020655B7
	v_cndmask_b32_e64 v45, v39, v41, s[48:49]                  // 0000000056C4: D100002D 00C25327
	v_perm_b32 v167, v45, v44, s52                             // 0000000056CC: D1ED00A7 00D2592D
	ds_write_b64 v3, v[152:153] offset:24832                   // 0000000056D4: D89A6100 00009803
	ds_write_b64 v3, v[154:155] offset:33536                   // 0000000056DC: D89A8300 00009A03
	ds_write_b64 v3, v[156:157] offset:27008                   // 0000000056E4: D89A6980 00009C03
	ds_write_b64 v3, v[158:159] offset:35712                   // 0000000056EC: D89A8B80 00009E03
	ds_write_b64 v3, v[160:161] offset:29184                   // 0000000056F4: D89A7200 0000A003
	ds_write_b64 v3, v[162:163] offset:37888                   // 0000000056FC: D89A9400 0000A203
	ds_write_b64 v3, v[164:165] offset:31360                   // 000000005704: D89A7A80 0000A403
	ds_write_b64 v3, v[166:167] offset:40064                   // 00000000570C: D89A9C80 0000A603
	s_waitcnt lgkmcnt(0)                                       // 000000005714: BF8CC07F
	s_barrier                                                  // 000000005718: BF8A0000
	ds_read_b32 v64, v4 offset:24832                           // 00000000571C: D86C6100 40000004
	ds_read_b32 v65, v4 offset:29184                           // 000000005724: D86C7200 41000004
	ds_read_b32 v66, v4 offset:24864                           // 00000000572C: D86C6120 42000004
	ds_read_b32 v67, v4 offset:29216                           // 000000005734: D86C7220 43000004
	ds_read_b32 v68, v4 offset:24896                           // 00000000573C: D86C6140 44000004
	ds_read_b32 v69, v4 offset:29248                           // 000000005744: D86C7240 45000004
	ds_read_b32 v70, v4 offset:24928                           // 00000000574C: D86C6160 46000004
	ds_read_b32 v71, v4 offset:29280                           // 000000005754: D86C7260 47000004
	ds_read_b32 v72, v4 offset:33536                           // 00000000575C: D86C8300 48000004
	ds_read_b32 v73, v4 offset:37888                           // 000000005764: D86C9400 49000004
	ds_read_b32 v74, v4 offset:33568                           // 00000000576C: D86C8320 4A000004
	ds_read_b32 v75, v4 offset:37920                           // 000000005774: D86C9420 4B000004
	ds_read_b32 v76, v4 offset:33600                           // 00000000577C: D86C8340 4C000004
	ds_read_b32 v77, v4 offset:37952                           // 000000005784: D86C9440 4D000004
	ds_read_b32 v78, v4 offset:33632                           // 00000000578C: D86C8360 4E000004
	ds_read_b32 v79, v4 offset:37984                           // 000000005794: D86C9460 4F000004
	s_waitcnt lgkmcnt(0)                                       // 00000000579C: BF8CC07F
	s_mov_b64 exec, s[20:21]                                   // 0000000057A0: BEFE0114
	global_atomic_pk_add_bf16 v80, v64, s[8:9]                 // 0000000057A4: DD488000 00084050
	s_mov_b64 exec, s[36:37]                                   // 0000000057AC: BEFE0124
	s_mov_b64 exec, s[20:21]                                   // 0000000057B0: BEFE0114
	global_atomic_pk_add_bf16 v80, v65, s[8:9] offset:256      // 0000000057B4: DD488100 00084150
	s_mov_b64 exec, s[36:37]                                   // 0000000057BC: BEFE0124
	s_mov_b64 exec, s[22:23]                                   // 0000000057C0: BEFE0116
	global_atomic_pk_add_bf16 v82, v66, s[8:9]                 // 0000000057C4: DD488000 00084252
	s_mov_b64 exec, s[36:37]                                   // 0000000057CC: BEFE0124
	s_mov_b64 exec, s[22:23]                                   // 0000000057D0: BEFE0116
	global_atomic_pk_add_bf16 v82, v67, s[8:9] offset:256      // 0000000057D4: DD488100 00084352
	s_mov_b64 exec, s[36:37]                                   // 0000000057DC: BEFE0124
	s_mov_b64 exec, s[24:25]                                   // 0000000057E0: BEFE0118
	global_atomic_pk_add_bf16 v84, v68, s[8:9]                 // 0000000057E4: DD488000 00084454
	s_mov_b64 exec, s[36:37]                                   // 0000000057EC: BEFE0124
	s_mov_b64 exec, s[24:25]                                   // 0000000057F0: BEFE0118
	global_atomic_pk_add_bf16 v84, v69, s[8:9] offset:256      // 0000000057F4: DD488100 00084554
	s_mov_b64 exec, s[36:37]                                   // 0000000057FC: BEFE0124
	s_mov_b64 exec, s[26:27]                                   // 000000005800: BEFE011A
	global_atomic_pk_add_bf16 v86, v70, s[8:9]                 // 000000005804: DD488000 00084656
	s_mov_b64 exec, s[36:37]                                   // 00000000580C: BEFE0124
	s_mov_b64 exec, s[26:27]                                   // 000000005810: BEFE011A
	global_atomic_pk_add_bf16 v86, v71, s[8:9] offset:256      // 000000005814: DD488100 00084756
	s_mov_b64 exec, s[36:37]                                   // 00000000581C: BEFE0124
	s_mov_b64 exec, s[28:29]                                   // 000000005820: BEFE011C
	global_atomic_pk_add_bf16 v88, v72, s[8:9]                 // 000000005824: DD488000 00084858
	s_mov_b64 exec, s[36:37]                                   // 00000000582C: BEFE0124
	s_mov_b64 exec, s[28:29]                                   // 000000005830: BEFE011C
	global_atomic_pk_add_bf16 v88, v73, s[8:9] offset:256      // 000000005834: DD488100 00084958
	s_mov_b64 exec, s[36:37]                                   // 00000000583C: BEFE0124
	s_mov_b64 exec, s[30:31]                                   // 000000005840: BEFE011E
	global_atomic_pk_add_bf16 v90, v74, s[8:9]                 // 000000005844: DD488000 00084A5A
	s_mov_b64 exec, s[36:37]                                   // 00000000584C: BEFE0124
	s_mov_b64 exec, s[30:31]                                   // 000000005850: BEFE011E
	global_atomic_pk_add_bf16 v90, v75, s[8:9] offset:256      // 000000005854: DD488100 00084B5A
	s_mov_b64 exec, s[36:37]                                   // 00000000585C: BEFE0124
	s_mov_b64 exec, s[32:33]                                   // 000000005860: BEFE0120
	global_atomic_pk_add_bf16 v92, v76, s[8:9]                 // 000000005864: DD488000 00084C5C
	s_mov_b64 exec, s[36:37]                                   // 00000000586C: BEFE0124
	s_mov_b64 exec, s[32:33]                                   // 000000005870: BEFE0120
	global_atomic_pk_add_bf16 v92, v77, s[8:9] offset:256      // 000000005874: DD488100 00084D5C
	s_mov_b64 exec, s[36:37]                                   // 00000000587C: BEFE0124
	s_mov_b64 exec, s[34:35]                                   // 000000005880: BEFE0122
	global_atomic_pk_add_bf16 v94, v78, s[8:9]                 // 000000005884: DD488000 00084E5E
	s_mov_b64 exec, s[36:37]                                   // 00000000588C: BEFE0124
	s_mov_b64 exec, s[34:35]                                   // 000000005890: BEFE0122
	global_atomic_pk_add_bf16 v94, v79, s[8:9] offset:256      // 000000005894: DD488100 00084F5E
	s_mov_b64 exec, s[36:37]                                   // 00000000589C: BEFE0124
	s_add_u32 s8, s59, s8                                      // 0000000058A0: 8008083B
	s_addc_u32 s9, 0, s9                                       // 0000000058A4: 82090980
	s_addk_i32 s80, 0x100                                      // 0000000058A8: B7500100
	s_cmp_lt_i32 s80, s81                                      // 0000000058AC: BF045150
	s_cbranch_scc0 label_0D32                                  // 0000000058B0: BF840285
	s_waitcnt vmcnt(25)                                        // 0000000058B4: BF8C4F79
	s_barrier                                                  // 0000000058B8: BF8A0000
	v_mfma_i32_16x16x32_i8 v[184:187], a[48:49], v[128:129], 0 // 0000000058BC: D3D700B8 0A030130
	v_mfma_i32_16x16x32_i8 v[184:187], a[50:51], v[130:131], v[184:187]// 0000000058C4: D3D700B8 0EE30532
	buffer_load_dwordx4 a[0:3], v35, s[12:15], 0 offen         // 0000000058CC: E05C1000 80830023
	v_mfma_i32_16x16x32_i8 v[188:191], a[48:49], v[140:141], 0 // 0000000058D4: D3D700BC 0A031930
	v_mfma_i32_16x16x32_i8 v[188:191], a[50:51], v[142:143], v[188:191]// 0000000058DC: D3D700BC 0EF31D32
	v_mfma_i32_16x16x32_i8 v[192:195], a[52:53], v[128:129], 0 // 0000000058E4: D3D700C0 0A030134
	v_mfma_i32_16x16x32_i8 v[192:195], a[54:55], v[130:131], v[192:195]// 0000000058EC: D3D700C0 0F030536
	buffer_load_dwordx4 a[4:7], v36, s[12:15], 0 offen         // 0000000058F4: E05C1000 80830424
	v_mfma_i32_16x16x32_i8 v[196:199], a[52:53], v[140:141], 0 // 0000000058FC: D3D700C4 0A031934
	v_mfma_i32_16x16x32_i8 v[196:199], a[54:55], v[142:143], v[196:199]// 000000005904: D3D700C4 0F131D36
	v_mfma_i32_16x16x32_i8 v[200:203], a[56:57], v[128:129], 0 // 00000000590C: D3D700C8 0A030138
	v_mfma_i32_16x16x32_i8 v[200:203], a[58:59], v[130:131], v[200:203]// 000000005914: D3D700C8 0F23053A
	buffer_load_dwordx4 a[8:11], v37, s[12:15], 0 offen        // 00000000591C: E05C1000 80830825
	v_mfma_i32_16x16x32_i8 v[204:207], a[56:57], v[140:141], 0 // 000000005924: D3D700CC 0A031938
	v_mfma_i32_16x16x32_i8 v[204:207], a[58:59], v[142:143], v[204:207]// 00000000592C: D3D700CC 0F331D3A
	v_mfma_i32_16x16x32_i8 v[208:211], a[60:61], v[128:129], 0 // 000000005934: D3D700D0 0A03013C
	v_mfma_i32_16x16x32_i8 v[208:211], a[62:63], v[130:131], v[208:211]// 00000000593C: D3D700D0 0F43053E
	buffer_load_dwordx4 a[12:15], v38, s[12:15], 0 offen       // 000000005944: E05C1000 80830C26
	s_add_u32 s12, s78, s12                                    // 00000000594C: 800C0C4E
	s_addc_u32 s13, 0, s13                                     // 000000005950: 820D0D80
	v_mfma_i32_16x16x32_i8 v[212:215], a[60:61], v[140:141], 0 // 000000005954: D3D700D4 0A03193C
	v_mfma_i32_16x16x32_i8 v[212:215], a[62:63], v[142:143], v[212:215]// 00000000595C: D3D700D4 0F531D3E
	s_waitcnt vmcnt(25)                                        // 000000005964: BF8C4F79
	v_mfma_i32_16x16x32_i8 v[184:187], a[64:65], v[132:133], v[184:187]// 000000005968: D3D700B8 0EE30940
	v_mfma_i32_16x16x32_i8 v[184:187], a[66:67], v[134:135], v[184:187]// 000000005970: D3D700B8 0EE30D42
	buffer_load_dwordx4 a[16:19], v35, s[12:15], 0 offen       // 000000005978: E05C1000 80831023
	v_mfma_i32_16x16x32_i8 v[188:191], a[64:65], v[144:145], v[188:191]// 000000005980: D3D700BC 0EF32140
	v_mfma_i32_16x16x32_i8 v[188:191], a[66:67], v[146:147], v[188:191]// 000000005988: D3D700BC 0EF32542
	v_mfma_i32_16x16x32_i8 v[192:195], a[68:69], v[132:133], v[192:195]// 000000005990: D3D700C0 0F030944
	v_mfma_i32_16x16x32_i8 v[192:195], a[70:71], v[134:135], v[192:195]// 000000005998: D3D700C0 0F030D46
	buffer_load_dwordx4 a[20:23], v36, s[12:15], 0 offen       // 0000000059A0: E05C1000 80831424
	v_mfma_i32_16x16x32_i8 v[196:199], a[68:69], v[144:145], v[196:199]// 0000000059A8: D3D700C4 0F132144
	v_mfma_i32_16x16x32_i8 v[196:199], a[70:71], v[146:147], v[196:199]// 0000000059B0: D3D700C4 0F132546
	v_mfma_i32_16x16x32_i8 v[200:203], a[72:73], v[132:133], v[200:203]// 0000000059B8: D3D700C8 0F230948
	v_mfma_i32_16x16x32_i8 v[200:203], a[74:75], v[134:135], v[200:203]// 0000000059C0: D3D700C8 0F230D4A
	buffer_load_dwordx4 a[24:27], v37, s[12:15], 0 offen       // 0000000059C8: E05C1000 80831825
	v_mfma_i32_16x16x32_i8 v[204:207], a[72:73], v[144:145], v[204:207]// 0000000059D0: D3D700CC 0F332148
	v_mfma_i32_16x16x32_i8 v[204:207], a[74:75], v[146:147], v[204:207]// 0000000059D8: D3D700CC 0F33254A
	v_mfma_i32_16x16x32_i8 v[208:211], a[76:77], v[132:133], v[208:211]// 0000000059E0: D3D700D0 0F43094C
	v_mfma_i32_16x16x32_i8 v[208:211], a[78:79], v[134:135], v[208:211]// 0000000059E8: D3D700D0 0F430D4E
	buffer_load_dwordx4 a[28:31], v38, s[12:15], 0 offen       // 0000000059F0: E05C1000 80831C26
	s_add_u32 s12, s78, s12                                    // 0000000059F8: 800C0C4E
	s_addc_u32 s13, 0, s13                                     // 0000000059FC: 820D0D80
	v_mfma_i32_16x16x32_i8 v[212:215], a[76:77], v[144:145], v[212:215]// 000000005A00: D3D700D4 0F53214C
	v_mfma_i32_16x16x32_i8 v[212:215], a[78:79], v[146:147], v[212:215]// 000000005A08: D3D700D4 0F53254E
	s_waitcnt vmcnt(24)                                        // 000000005A10: BF8C4F78
	v_mfma_i32_16x16x32_i8 v[184:187], a[80:81], v[136:137], v[184:187]// 000000005A14: D3D700B8 0EE31150
	v_mfma_i32_16x16x32_i8 v[184:187], a[82:83], v[138:139], v[184:187]// 000000005A1C: D3D700B8 0EE31552
	buffer_load_dwordx4 a[32:35], v35, s[12:15], 0 offen       // 000000005A24: E05C1000 80832023
	v_mfma_i32_16x16x32_i8 v[188:191], a[80:81], v[148:149], v[188:191]// 000000005A2C: D3D700BC 0EF32950
	v_mfma_i32_16x16x32_i8 v[188:191], a[82:83], v[150:151], v[188:191]// 000000005A34: D3D700BC 0EF32D52
	buffer_load_dword v11, v5, s[16:19], 0 offen               // 000000005A3C: E0501000 80040B05
	v_mfma_i32_16x16x32_i8 v[192:195], a[84:85], v[136:137], v[192:195]// 000000005A44: D3D700C0 0F031154
	v_mfma_i32_16x16x32_i8 v[192:195], a[86:87], v[138:139], v[192:195]// 000000005A4C: D3D700C0 0F031556
	buffer_load_dwordx4 a[36:39], v36, s[12:15], 0 offen       // 000000005A54: E05C1000 80832424
	v_mfma_i32_16x16x32_i8 v[196:199], a[84:85], v[148:149], v[196:199]// 000000005A5C: D3D700C4 0F132954
	v_mfma_i32_16x16x32_i8 v[196:199], a[86:87], v[150:151], v[196:199]// 000000005A64: D3D700C4 0F132D56
	v_mfma_i32_16x16x32_i8 v[200:203], a[88:89], v[136:137], v[200:203]// 000000005A6C: D3D700C8 0F231158
	v_mfma_i32_16x16x32_i8 v[200:203], a[90:91], v[138:139], v[200:203]// 000000005A74: D3D700C8 0F23155A
	buffer_load_dwordx4 a[40:43], v37, s[12:15], 0 offen       // 000000005A7C: E05C1000 80832825
	v_mfma_i32_16x16x32_i8 v[204:207], a[88:89], v[148:149], v[204:207]// 000000005A84: D3D700CC 0F332958
	v_mfma_i32_16x16x32_i8 v[204:207], a[90:91], v[150:151], v[204:207]// 000000005A8C: D3D700CC 0F332D5A
	v_mfma_i32_16x16x32_i8 v[208:211], a[92:93], v[136:137], v[208:211]// 000000005A94: D3D700D0 0F43115C
	v_mfma_i32_16x16x32_i8 v[208:211], a[94:95], v[138:139], v[208:211]// 000000005A9C: D3D700D0 0F43155E
	buffer_load_dwordx4 a[44:47], v38, s[12:15], 0 offen       // 000000005AA4: E05C1000 80832C26
	v_mfma_i32_16x16x32_i8 v[212:215], a[92:93], v[148:149], v[212:215]// 000000005AAC: D3D700D4 0F53295C
	v_mfma_i32_16x16x32_i8 v[212:215], a[94:95], v[150:151], v[212:215]// 000000005AB4: D3D700D4 0F532D5E
	s_add_u32 s60, 0x200, s80                                  // 000000005ABC: 803C50FF 00000200
	s_cmp_lt_u32 s60, s81                                      // 000000005AC4: BF0A513C
	s_cselect_b32 s56, s56, 0                                  // 000000005AC8: 85388038
	s_cselect_b32 s78, s78, 0                                  // 000000005ACC: 854E804E
	s_cselect_b32 s79, s79, 0                                  // 000000005AD0: 854F804F
	s_add_u32 s12, s56, s12                                    // 000000005AD4: 800C0C38
	s_addc_u32 s13, 0, s13                                     // 000000005AD8: 820D0D80
	s_add_u32 s16, s79, s16                                    // 000000005ADC: 8010104F
	s_addc_u32 s17, 0, s17                                     // 000000005AE0: 82111180
	v_cvt_f32_i32_e32 v184, v184                               // 000000005AE4: 7F700BB8
	v_cvt_f32_i32_e32 v185, v185                               // 000000005AE8: 7F720BB9
	v_cvt_f32_i32_e32 v186, v186                               // 000000005AEC: 7F740BBA
	v_cvt_f32_i32_e32 v187, v187                               // 000000005AF0: 7F760BBB
	v_mul_f32_e32 v184, v22, v184                              // 000000005AF4: 0B717116
	v_mul_f32_e32 v185, v22, v185                              // 000000005AF8: 0B737316
	v_mul_f32_e32 v186, v22, v186                              // 000000005AFC: 0B757516
	v_mul_f32_e32 v187, v22, v187                              // 000000005B00: 0B777716
	v_mul_f32_dpp v184, v12, v184 row_newbcast:0 row_mask:0xf bank_mask:0xf// 000000005B04: 0B7170FA FF01500C
	v_mul_f32_dpp v185, v12, v185 row_newbcast:1 row_mask:0xf bank_mask:0xf// 000000005B0C: 0B7372FA FF01510C
	v_mul_f32_dpp v186, v12, v186 row_newbcast:2 row_mask:0xf bank_mask:0xf// 000000005B14: 0B7574FA FF01520C
	v_mul_f32_dpp v187, v12, v187 row_newbcast:3 row_mask:0xf bank_mask:0xf// 000000005B1C: 0B7776FA FF01530C
	v_mul_f32_e32 v184, v17, v184                              // 000000005B24: 0B717111
	v_mul_f32_e32 v185, v17, v185                              // 000000005B28: 0B737311
	v_mul_f32_e32 v186, v17, v186                              // 000000005B2C: 0B757511
	v_mul_f32_e32 v187, v17, v187                              // 000000005B30: 0B777711
	v_cvt_f32_i32_e32 v188, v188                               // 000000005B34: 7F780BBC
	v_cvt_f32_i32_e32 v189, v189                               // 000000005B38: 7F7A0BBD
	v_cvt_f32_i32_e32 v190, v190                               // 000000005B3C: 7F7C0BBE
	v_cvt_f32_i32_e32 v191, v191                               // 000000005B40: 7F7E0BBF
	v_mul_f32_e32 v188, v23, v188                              // 000000005B44: 0B797917
	v_mul_f32_e32 v189, v23, v189                              // 000000005B48: 0B7B7B17
	v_mul_f32_e32 v190, v23, v190                              // 000000005B4C: 0B7D7D17
	v_mul_f32_e32 v191, v23, v191                              // 000000005B50: 0B7F7F17
	v_mul_f32_dpp v188, v12, v188 row_newbcast:0 row_mask:0xf bank_mask:0xf// 000000005B54: 0B7978FA FF01500C
	v_mul_f32_dpp v189, v12, v189 row_newbcast:1 row_mask:0xf bank_mask:0xf// 000000005B5C: 0B7B7AFA FF01510C
	v_mul_f32_dpp v190, v12, v190 row_newbcast:2 row_mask:0xf bank_mask:0xf// 000000005B64: 0B7D7CFA FF01520C
	v_mul_f32_dpp v191, v12, v191 row_newbcast:3 row_mask:0xf bank_mask:0xf// 000000005B6C: 0B7F7EFA FF01530C
	v_mul_f32_e32 v188, v18, v188                              // 000000005B74: 0B797912
	v_mul_f32_e32 v189, v18, v189                              // 000000005B78: 0B7B7B12
	v_mul_f32_e32 v190, v18, v190                              // 000000005B7C: 0B7D7D12
	v_mul_f32_e32 v191, v18, v191                              // 000000005B80: 0B7F7F12
	v_cvt_f32_i32_e32 v192, v192                               // 000000005B84: 7F800BC0
	v_cvt_f32_i32_e32 v193, v193                               // 000000005B88: 7F820BC1
	v_cvt_f32_i32_e32 v194, v194                               // 000000005B8C: 7F840BC2
	v_cvt_f32_i32_e32 v195, v195                               // 000000005B90: 7F860BC3
	v_mul_f32_e32 v192, v22, v192                              // 000000005B94: 0B818116
	v_mul_f32_e32 v193, v22, v193                              // 000000005B98: 0B838316
	v_mul_f32_e32 v194, v22, v194                              // 000000005B9C: 0B858516
	v_mul_f32_e32 v195, v22, v195                              // 000000005BA0: 0B878716
	v_mul_f32_dpp v192, v12, v192 row_newbcast:4 row_mask:0xf bank_mask:0xf// 000000005BA4: 0B8180FA FF01540C
	v_mul_f32_dpp v193, v12, v193 row_newbcast:5 row_mask:0xf bank_mask:0xf// 000000005BAC: 0B8382FA FF01550C
	v_mul_f32_dpp v194, v12, v194 row_newbcast:6 row_mask:0xf bank_mask:0xf// 000000005BB4: 0B8584FA FF01560C
	v_mul_f32_dpp v195, v12, v195 row_newbcast:7 row_mask:0xf bank_mask:0xf// 000000005BBC: 0B8786FA FF01570C
	v_mul_f32_e32 v192, v17, v192                              // 000000005BC4: 0B818111
	v_mul_f32_e32 v193, v17, v193                              // 000000005BC8: 0B838311
	v_mul_f32_e32 v194, v17, v194                              // 000000005BCC: 0B858511
	v_mul_f32_e32 v195, v17, v195                              // 000000005BD0: 0B878711
	v_cvt_f32_i32_e32 v196, v196                               // 000000005BD4: 7F880BC4
	v_cvt_f32_i32_e32 v197, v197                               // 000000005BD8: 7F8A0BC5
	v_cvt_f32_i32_e32 v198, v198                               // 000000005BDC: 7F8C0BC6
	v_cvt_f32_i32_e32 v199, v199                               // 000000005BE0: 7F8E0BC7
	v_mul_f32_e32 v196, v23, v196                              // 000000005BE4: 0B898917
	v_mul_f32_e32 v197, v23, v197                              // 000000005BE8: 0B8B8B17
	v_mul_f32_e32 v198, v23, v198                              // 000000005BEC: 0B8D8D17
	v_mul_f32_e32 v199, v23, v199                              // 000000005BF0: 0B8F8F17
	v_mul_f32_dpp v196, v12, v196 row_newbcast:4 row_mask:0xf bank_mask:0xf// 000000005BF4: 0B8988FA FF01540C
	v_mul_f32_dpp v197, v12, v197 row_newbcast:5 row_mask:0xf bank_mask:0xf// 000000005BFC: 0B8B8AFA FF01550C
	v_mul_f32_dpp v198, v12, v198 row_newbcast:6 row_mask:0xf bank_mask:0xf// 000000005C04: 0B8D8CFA FF01560C
	v_mul_f32_dpp v199, v12, v199 row_newbcast:7 row_mask:0xf bank_mask:0xf// 000000005C0C: 0B8F8EFA FF01570C
	v_mul_f32_e32 v196, v18, v196                              // 000000005C14: 0B898912
	v_mul_f32_e32 v197, v18, v197                              // 000000005C18: 0B8B8B12
	v_mul_f32_e32 v198, v18, v198                              // 000000005C1C: 0B8D8D12
	v_mul_f32_e32 v199, v18, v199                              // 000000005C20: 0B8F8F12
	v_cvt_f32_i32_e32 v200, v200                               // 000000005C24: 7F900BC8
	v_cvt_f32_i32_e32 v201, v201                               // 000000005C28: 7F920BC9
	v_cvt_f32_i32_e32 v202, v202                               // 000000005C2C: 7F940BCA
	v_cvt_f32_i32_e32 v203, v203                               // 000000005C30: 7F960BCB
	v_mul_f32_e32 v200, v22, v200                              // 000000005C34: 0B919116
	v_mul_f32_e32 v201, v22, v201                              // 000000005C38: 0B939316
	v_mul_f32_e32 v202, v22, v202                              // 000000005C3C: 0B959516
	v_mul_f32_e32 v203, v22, v203                              // 000000005C40: 0B979716
	v_mul_f32_dpp v200, v12, v200 row_newbcast:8 row_mask:0xf bank_mask:0xf// 000000005C44: 0B9190FA FF01580C
	v_mul_f32_dpp v201, v12, v201 row_newbcast:9 row_mask:0xf bank_mask:0xf// 000000005C4C: 0B9392FA FF01590C
	v_mul_f32_dpp v202, v12, v202 row_newbcast:10 row_mask:0xf bank_mask:0xf// 000000005C54: 0B9594FA FF015A0C
	v_mul_f32_dpp v203, v12, v203 row_newbcast:11 row_mask:0xf bank_mask:0xf// 000000005C5C: 0B9796FA FF015B0C
	v_mul_f32_e32 v200, v17, v200                              // 000000005C64: 0B919111
	v_mul_f32_e32 v201, v17, v201                              // 000000005C68: 0B939311
	v_mul_f32_e32 v202, v17, v202                              // 000000005C6C: 0B959511
	v_mul_f32_e32 v203, v17, v203                              // 000000005C70: 0B979711
	v_cvt_f32_i32_e32 v204, v204                               // 000000005C74: 7F980BCC
	v_cvt_f32_i32_e32 v205, v205                               // 000000005C78: 7F9A0BCD
	v_cvt_f32_i32_e32 v206, v206                               // 000000005C7C: 7F9C0BCE
	v_cvt_f32_i32_e32 v207, v207                               // 000000005C80: 7F9E0BCF
	v_mul_f32_e32 v204, v23, v204                              // 000000005C84: 0B999917
	v_mul_f32_e32 v205, v23, v205                              // 000000005C88: 0B9B9B17
	v_mul_f32_e32 v206, v23, v206                              // 000000005C8C: 0B9D9D17
	v_mul_f32_e32 v207, v23, v207                              // 000000005C90: 0B9F9F17
	v_mul_f32_dpp v204, v12, v204 row_newbcast:8 row_mask:0xf bank_mask:0xf// 000000005C94: 0B9998FA FF01580C
	v_mul_f32_dpp v205, v12, v205 row_newbcast:9 row_mask:0xf bank_mask:0xf// 000000005C9C: 0B9B9AFA FF01590C
	v_mul_f32_dpp v206, v12, v206 row_newbcast:10 row_mask:0xf bank_mask:0xf// 000000005CA4: 0B9D9CFA FF015A0C
	v_mul_f32_dpp v207, v12, v207 row_newbcast:11 row_mask:0xf bank_mask:0xf// 000000005CAC: 0B9F9EFA FF015B0C
	v_mul_f32_e32 v204, v18, v204                              // 000000005CB4: 0B999912
	v_mul_f32_e32 v205, v18, v205                              // 000000005CB8: 0B9B9B12
	v_mul_f32_e32 v206, v18, v206                              // 000000005CBC: 0B9D9D12
	v_mul_f32_e32 v207, v18, v207                              // 000000005CC0: 0B9F9F12
	v_cvt_f32_i32_e32 v208, v208                               // 000000005CC4: 7FA00BD0
	v_cvt_f32_i32_e32 v209, v209                               // 000000005CC8: 7FA20BD1
	v_cvt_f32_i32_e32 v210, v210                               // 000000005CCC: 7FA40BD2
	v_cvt_f32_i32_e32 v211, v211                               // 000000005CD0: 7FA60BD3
	v_mul_f32_e32 v208, v22, v208                              // 000000005CD4: 0BA1A116
	v_mul_f32_e32 v209, v22, v209                              // 000000005CD8: 0BA3A316
	v_mul_f32_e32 v210, v22, v210                              // 000000005CDC: 0BA5A516
	v_mul_f32_e32 v211, v22, v211                              // 000000005CE0: 0BA7A716
	v_mul_f32_dpp v208, v12, v208 row_newbcast:12 row_mask:0xf bank_mask:0xf// 000000005CE4: 0BA1A0FA FF015C0C
	v_mul_f32_dpp v209, v12, v209 row_newbcast:13 row_mask:0xf bank_mask:0xf// 000000005CEC: 0BA3A2FA FF015D0C
	v_mul_f32_dpp v210, v12, v210 row_newbcast:14 row_mask:0xf bank_mask:0xf// 000000005CF4: 0BA5A4FA FF015E0C
	v_mul_f32_dpp v211, v12, v211 row_newbcast:15 row_mask:0xf bank_mask:0xf// 000000005CFC: 0BA7A6FA FF015F0C
	v_mul_f32_e32 v208, v17, v208                              // 000000005D04: 0BA1A111
	v_mul_f32_e32 v209, v17, v209                              // 000000005D08: 0BA3A311
	v_mul_f32_e32 v210, v17, v210                              // 000000005D0C: 0BA5A511
	v_mul_f32_e32 v211, v17, v211                              // 000000005D10: 0BA7A711
	v_cvt_f32_i32_e32 v212, v212                               // 000000005D14: 7FA80BD4
	v_cvt_f32_i32_e32 v213, v213                               // 000000005D18: 7FAA0BD5
	v_cvt_f32_i32_e32 v214, v214                               // 000000005D1C: 7FAC0BD6
	v_cvt_f32_i32_e32 v215, v215                               // 000000005D20: 7FAE0BD7
	v_mul_f32_e32 v212, v23, v212                              // 000000005D24: 0BA9A917
	v_mul_f32_e32 v213, v23, v213                              // 000000005D28: 0BABAB17
	v_mul_f32_e32 v214, v23, v214                              // 000000005D2C: 0BADAD17
	v_mul_f32_e32 v215, v23, v215                              // 000000005D30: 0BAFAF17
	v_mul_f32_dpp v212, v12, v212 row_newbcast:12 row_mask:0xf bank_mask:0xf// 000000005D34: 0BA9A8FA FF015C0C
	v_mul_f32_dpp v213, v12, v213 row_newbcast:13 row_mask:0xf bank_mask:0xf// 000000005D3C: 0BABAAFA FF015D0C
	v_mul_f32_dpp v214, v12, v214 row_newbcast:14 row_mask:0xf bank_mask:0xf// 000000005D44: 0BADACFA FF015E0C
	v_mul_f32_dpp v215, v12, v215 row_newbcast:15 row_mask:0xf bank_mask:0xf// 000000005D4C: 0BAFAEFA FF015F0C
	v_mul_f32_e32 v212, v18, v212                              // 000000005D54: 0BA9A912
	v_mul_f32_e32 v213, v18, v213                              // 000000005D58: 0BABAB12
	v_mul_f32_e32 v214, v18, v214                              // 000000005D5C: 0BADAD12
	v_mul_f32_e32 v215, v18, v215                              // 000000005D60: 0BAFAF12
	v_cmp_u_f32_e64 s[48:49], v184, v184                       // 000000005D64: D0480030 000371B8
	v_add3_u32 v39, v184, v42, 1                               // 000000005D6C: D1FF0027 020655B8
	v_cndmask_b32_e64 v44, v39, v41, s[48:49]                  // 000000005D74: D100002C 00C25327
	v_cmp_u_f32_e64 s[48:49], v185, v185                       // 000000005D7C: D0480030 000373B9
	v_add3_u32 v39, v185, v42, 1                               // 000000005D84: D1FF0027 020655B9
	v_cndmask_b32_e64 v45, v39, v41, s[48:49]                  // 000000005D8C: D100002D 00C25327
	v_perm_b32 v184, v45, v44, s52                             // 000000005D94: D1ED00B8 00D2592D
	v_cmp_u_f32_e64 s[48:49], v186, v186                       // 000000005D9C: D0480030 000375BA
	v_add3_u32 v39, v186, v42, 1                               // 000000005DA4: D1FF0027 020655BA
	v_cndmask_b32_e64 v44, v39, v41, s[48:49]                  // 000000005DAC: D100002C 00C25327
	v_cmp_u_f32_e64 s[48:49], v187, v187                       // 000000005DB4: D0480030 000377BB
	v_add3_u32 v39, v187, v42, 1                               // 000000005DBC: D1FF0027 020655BB
	v_cndmask_b32_e64 v45, v39, v41, s[48:49]                  // 000000005DC4: D100002D 00C25327
	v_perm_b32 v185, v45, v44, s52                             // 000000005DCC: D1ED00B9 00D2592D
	v_cmp_u_f32_e64 s[48:49], v188, v188                       // 000000005DD4: D0480030 000379BC
	v_add3_u32 v39, v188, v42, 1                               // 000000005DDC: D1FF0027 020655BC
	v_cndmask_b32_e64 v44, v39, v41, s[48:49]                  // 000000005DE4: D100002C 00C25327
	v_cmp_u_f32_e64 s[48:49], v189, v189                       // 000000005DEC: D0480030 00037BBD
	v_add3_u32 v39, v189, v42, 1                               // 000000005DF4: D1FF0027 020655BD
	v_cndmask_b32_e64 v45, v39, v41, s[48:49]                  // 000000005DFC: D100002D 00C25327
	v_perm_b32 v186, v45, v44, s52                             // 000000005E04: D1ED00BA 00D2592D
	v_cmp_u_f32_e64 s[48:49], v190, v190                       // 000000005E0C: D0480030 00037DBE
	v_add3_u32 v39, v190, v42, 1                               // 000000005E14: D1FF0027 020655BE
	v_cndmask_b32_e64 v44, v39, v41, s[48:49]                  // 000000005E1C: D100002C 00C25327
	v_cmp_u_f32_e64 s[48:49], v191, v191                       // 000000005E24: D0480030 00037FBF
	v_add3_u32 v39, v191, v42, 1                               // 000000005E2C: D1FF0027 020655BF
	v_cndmask_b32_e64 v45, v39, v41, s[48:49]                  // 000000005E34: D100002D 00C25327
	v_perm_b32 v187, v45, v44, s52                             // 000000005E3C: D1ED00BB 00D2592D
	v_cmp_u_f32_e64 s[48:49], v192, v192                       // 000000005E44: D0480030 000381C0
	v_add3_u32 v39, v192, v42, 1                               // 000000005E4C: D1FF0027 020655C0
	v_cndmask_b32_e64 v44, v39, v41, s[48:49]                  // 000000005E54: D100002C 00C25327
	v_cmp_u_f32_e64 s[48:49], v193, v193                       // 000000005E5C: D0480030 000383C1
	v_add3_u32 v39, v193, v42, 1                               // 000000005E64: D1FF0027 020655C1
	v_cndmask_b32_e64 v45, v39, v41, s[48:49]                  // 000000005E6C: D100002D 00C25327
	v_perm_b32 v188, v45, v44, s52                             // 000000005E74: D1ED00BC 00D2592D
	v_cmp_u_f32_e64 s[48:49], v194, v194                       // 000000005E7C: D0480030 000385C2
	v_add3_u32 v39, v194, v42, 1                               // 000000005E84: D1FF0027 020655C2
	v_cndmask_b32_e64 v44, v39, v41, s[48:49]                  // 000000005E8C: D100002C 00C25327
	v_cmp_u_f32_e64 s[48:49], v195, v195                       // 000000005E94: D0480030 000387C3
	v_add3_u32 v39, v195, v42, 1                               // 000000005E9C: D1FF0027 020655C3
	v_cndmask_b32_e64 v45, v39, v41, s[48:49]                  // 000000005EA4: D100002D 00C25327
	v_perm_b32 v189, v45, v44, s52                             // 000000005EAC: D1ED00BD 00D2592D
	v_cmp_u_f32_e64 s[48:49], v196, v196                       // 000000005EB4: D0480030 000389C4
	v_add3_u32 v39, v196, v42, 1                               // 000000005EBC: D1FF0027 020655C4
	v_cndmask_b32_e64 v44, v39, v41, s[48:49]                  // 000000005EC4: D100002C 00C25327
	v_cmp_u_f32_e64 s[48:49], v197, v197                       // 000000005ECC: D0480030 00038BC5
	v_add3_u32 v39, v197, v42, 1                               // 000000005ED4: D1FF0027 020655C5
	v_cndmask_b32_e64 v45, v39, v41, s[48:49]                  // 000000005EDC: D100002D 00C25327
	v_perm_b32 v190, v45, v44, s52                             // 000000005EE4: D1ED00BE 00D2592D
	v_cmp_u_f32_e64 s[48:49], v198, v198                       // 000000005EEC: D0480030 00038DC6
	v_add3_u32 v39, v198, v42, 1                               // 000000005EF4: D1FF0027 020655C6
	v_cndmask_b32_e64 v44, v39, v41, s[48:49]                  // 000000005EFC: D100002C 00C25327
	v_cmp_u_f32_e64 s[48:49], v199, v199                       // 000000005F04: D0480030 00038FC7
	v_add3_u32 v39, v199, v42, 1                               // 000000005F0C: D1FF0027 020655C7
	v_cndmask_b32_e64 v45, v39, v41, s[48:49]                  // 000000005F14: D100002D 00C25327
	v_perm_b32 v191, v45, v44, s52                             // 000000005F1C: D1ED00BF 00D2592D
	v_cmp_u_f32_e64 s[48:49], v200, v200                       // 000000005F24: D0480030 000391C8
	v_add3_u32 v39, v200, v42, 1                               // 000000005F2C: D1FF0027 020655C8
	v_cndmask_b32_e64 v44, v39, v41, s[48:49]                  // 000000005F34: D100002C 00C25327
	v_cmp_u_f32_e64 s[48:49], v201, v201                       // 000000005F3C: D0480030 000393C9
	v_add3_u32 v39, v201, v42, 1                               // 000000005F44: D1FF0027 020655C9
	v_cndmask_b32_e64 v45, v39, v41, s[48:49]                  // 000000005F4C: D100002D 00C25327
	v_perm_b32 v192, v45, v44, s52                             // 000000005F54: D1ED00C0 00D2592D
	v_cmp_u_f32_e64 s[48:49], v202, v202                       // 000000005F5C: D0480030 000395CA
	v_add3_u32 v39, v202, v42, 1                               // 000000005F64: D1FF0027 020655CA
	v_cndmask_b32_e64 v44, v39, v41, s[48:49]                  // 000000005F6C: D100002C 00C25327
	v_cmp_u_f32_e64 s[48:49], v203, v203                       // 000000005F74: D0480030 000397CB
	v_add3_u32 v39, v203, v42, 1                               // 000000005F7C: D1FF0027 020655CB
	v_cndmask_b32_e64 v45, v39, v41, s[48:49]                  // 000000005F84: D100002D 00C25327
	v_perm_b32 v193, v45, v44, s52                             // 000000005F8C: D1ED00C1 00D2592D
	v_cmp_u_f32_e64 s[48:49], v204, v204                       // 000000005F94: D0480030 000399CC
	v_add3_u32 v39, v204, v42, 1                               // 000000005F9C: D1FF0027 020655CC
	v_cndmask_b32_e64 v44, v39, v41, s[48:49]                  // 000000005FA4: D100002C 00C25327
	v_cmp_u_f32_e64 s[48:49], v205, v205                       // 000000005FAC: D0480030 00039BCD
	v_add3_u32 v39, v205, v42, 1                               // 000000005FB4: D1FF0027 020655CD
	v_cndmask_b32_e64 v45, v39, v41, s[48:49]                  // 000000005FBC: D100002D 00C25327
	v_perm_b32 v194, v45, v44, s52                             // 000000005FC4: D1ED00C2 00D2592D
	v_cmp_u_f32_e64 s[48:49], v206, v206                       // 000000005FCC: D0480030 00039DCE
	v_add3_u32 v39, v206, v42, 1                               // 000000005FD4: D1FF0027 020655CE
	v_cndmask_b32_e64 v44, v39, v41, s[48:49]                  // 000000005FDC: D100002C 00C25327
	v_cmp_u_f32_e64 s[48:49], v207, v207                       // 000000005FE4: D0480030 00039FCF
	v_add3_u32 v39, v207, v42, 1                               // 000000005FEC: D1FF0027 020655CF
	v_cndmask_b32_e64 v45, v39, v41, s[48:49]                  // 000000005FF4: D100002D 00C25327
	v_perm_b32 v195, v45, v44, s52                             // 000000005FFC: D1ED00C3 00D2592D
	v_cmp_u_f32_e64 s[48:49], v208, v208                       // 000000006004: D0480030 0003A1D0
	v_add3_u32 v39, v208, v42, 1                               // 00000000600C: D1FF0027 020655D0
	v_cndmask_b32_e64 v44, v39, v41, s[48:49]                  // 000000006014: D100002C 00C25327
	v_cmp_u_f32_e64 s[48:49], v209, v209                       // 00000000601C: D0480030 0003A3D1
	v_add3_u32 v39, v209, v42, 1                               // 000000006024: D1FF0027 020655D1
	v_cndmask_b32_e64 v45, v39, v41, s[48:49]                  // 00000000602C: D100002D 00C25327
	v_perm_b32 v196, v45, v44, s52                             // 000000006034: D1ED00C4 00D2592D
	v_cmp_u_f32_e64 s[48:49], v210, v210                       // 00000000603C: D0480030 0003A5D2
	v_add3_u32 v39, v210, v42, 1                               // 000000006044: D1FF0027 020655D2
	v_cndmask_b32_e64 v44, v39, v41, s[48:49]                  // 00000000604C: D100002C 00C25327
	v_cmp_u_f32_e64 s[48:49], v211, v211                       // 000000006054: D0480030 0003A7D3
	v_add3_u32 v39, v211, v42, 1                               // 00000000605C: D1FF0027 020655D3
	v_cndmask_b32_e64 v45, v39, v41, s[48:49]                  // 000000006064: D100002D 00C25327
	v_perm_b32 v197, v45, v44, s52                             // 00000000606C: D1ED00C5 00D2592D
	v_cmp_u_f32_e64 s[48:49], v212, v212                       // 000000006074: D0480030 0003A9D4
	v_add3_u32 v39, v212, v42, 1                               // 00000000607C: D1FF0027 020655D4
	v_cndmask_b32_e64 v44, v39, v41, s[48:49]                  // 000000006084: D100002C 00C25327
	v_cmp_u_f32_e64 s[48:49], v213, v213                       // 00000000608C: D0480030 0003ABD5
	v_add3_u32 v39, v213, v42, 1                               // 000000006094: D1FF0027 020655D5
	v_cndmask_b32_e64 v45, v39, v41, s[48:49]                  // 00000000609C: D100002D 00C25327
	v_perm_b32 v198, v45, v44, s52                             // 0000000060A4: D1ED00C6 00D2592D
	v_cmp_u_f32_e64 s[48:49], v214, v214                       // 0000000060AC: D0480030 0003ADD6
	v_add3_u32 v39, v214, v42, 1                               // 0000000060B4: D1FF0027 020655D6
	v_cndmask_b32_e64 v44, v39, v41, s[48:49]                  // 0000000060BC: D100002C 00C25327
	v_cmp_u_f32_e64 s[48:49], v215, v215                       // 0000000060C4: D0480030 0003AFD7
	v_add3_u32 v39, v215, v42, 1                               // 0000000060CC: D1FF0027 020655D7
	v_cndmask_b32_e64 v45, v39, v41, s[48:49]                  // 0000000060D4: D100002D 00C25327
	v_perm_b32 v199, v45, v44, s52                             // 0000000060DC: D1ED00C7 00D2592D
	ds_write_b64 v3, v[184:185] offset:24832                   // 0000000060E4: D89A6100 0000B803
	ds_write_b64 v3, v[186:187] offset:33536                   // 0000000060EC: D89A8300 0000BA03
	ds_write_b64 v3, v[188:189] offset:27008                   // 0000000060F4: D89A6980 0000BC03
	ds_write_b64 v3, v[190:191] offset:35712                   // 0000000060FC: D89A8B80 0000BE03
	ds_write_b64 v3, v[192:193] offset:29184                   // 000000006104: D89A7200 0000C003
	ds_write_b64 v3, v[194:195] offset:37888                   // 00000000610C: D89A9400 0000C203
	ds_write_b64 v3, v[196:197] offset:31360                   // 000000006114: D89A7A80 0000C403
	ds_write_b64 v3, v[198:199] offset:40064                   // 00000000611C: D89A9C80 0000C603
	s_waitcnt lgkmcnt(0)                                       // 000000006124: BF8CC07F
	s_barrier                                                  // 000000006128: BF8A0000
	ds_read_b32 v64, v4 offset:24832                           // 00000000612C: D86C6100 40000004
	ds_read_b32 v65, v4 offset:29184                           // 000000006134: D86C7200 41000004
	ds_read_b32 v66, v4 offset:24864                           // 00000000613C: D86C6120 42000004
	ds_read_b32 v67, v4 offset:29216                           // 000000006144: D86C7220 43000004
	ds_read_b32 v68, v4 offset:24896                           // 00000000614C: D86C6140 44000004
	ds_read_b32 v69, v4 offset:29248                           // 000000006154: D86C7240 45000004
	ds_read_b32 v70, v4 offset:24928                           // 00000000615C: D86C6160 46000004
	ds_read_b32 v71, v4 offset:29280                           // 000000006164: D86C7260 47000004
	ds_read_b32 v72, v4 offset:33536                           // 00000000616C: D86C8300 48000004
	ds_read_b32 v73, v4 offset:37888                           // 000000006174: D86C9400 49000004
	ds_read_b32 v74, v4 offset:33568                           // 00000000617C: D86C8320 4A000004
	ds_read_b32 v75, v4 offset:37920                           // 000000006184: D86C9420 4B000004
	ds_read_b32 v76, v4 offset:33600                           // 00000000618C: D86C8340 4C000004
	ds_read_b32 v77, v4 offset:37952                           // 000000006194: D86C9440 4D000004
	ds_read_b32 v78, v4 offset:33632                           // 00000000619C: D86C8360 4E000004
	ds_read_b32 v79, v4 offset:37984                           // 0000000061A4: D86C9460 4F000004
	s_waitcnt lgkmcnt(0)                                       // 0000000061AC: BF8CC07F
	s_mov_b64 exec, s[20:21]                                   // 0000000061B0: BEFE0114
	global_atomic_pk_add_bf16 v80, v64, s[8:9]                 // 0000000061B4: DD488000 00084050
	s_mov_b64 exec, s[36:37]                                   // 0000000061BC: BEFE0124
	s_mov_b64 exec, s[20:21]                                   // 0000000061C0: BEFE0114
	global_atomic_pk_add_bf16 v80, v65, s[8:9] offset:256      // 0000000061C4: DD488100 00084150
	s_mov_b64 exec, s[36:37]                                   // 0000000061CC: BEFE0124
	s_mov_b64 exec, s[22:23]                                   // 0000000061D0: BEFE0116
	global_atomic_pk_add_bf16 v82, v66, s[8:9]                 // 0000000061D4: DD488000 00084252
	s_mov_b64 exec, s[36:37]                                   // 0000000061DC: BEFE0124
	s_mov_b64 exec, s[22:23]                                   // 0000000061E0: BEFE0116
	global_atomic_pk_add_bf16 v82, v67, s[8:9] offset:256      // 0000000061E4: DD488100 00084352
	s_mov_b64 exec, s[36:37]                                   // 0000000061EC: BEFE0124
	s_mov_b64 exec, s[24:25]                                   // 0000000061F0: BEFE0118
	global_atomic_pk_add_bf16 v84, v68, s[8:9]                 // 0000000061F4: DD488000 00084454
	s_mov_b64 exec, s[36:37]                                   // 0000000061FC: BEFE0124
	s_mov_b64 exec, s[24:25]                                   // 000000006200: BEFE0118
	global_atomic_pk_add_bf16 v84, v69, s[8:9] offset:256      // 000000006204: DD488100 00084554
	s_mov_b64 exec, s[36:37]                                   // 00000000620C: BEFE0124
	s_mov_b64 exec, s[26:27]                                   // 000000006210: BEFE011A
	global_atomic_pk_add_bf16 v86, v70, s[8:9]                 // 000000006214: DD488000 00084656
	s_mov_b64 exec, s[36:37]                                   // 00000000621C: BEFE0124
	s_mov_b64 exec, s[26:27]                                   // 000000006220: BEFE011A
	global_atomic_pk_add_bf16 v86, v71, s[8:9] offset:256      // 000000006224: DD488100 00084756
	s_mov_b64 exec, s[36:37]                                   // 00000000622C: BEFE0124
	s_mov_b64 exec, s[28:29]                                   // 000000006230: BEFE011C
	global_atomic_pk_add_bf16 v88, v72, s[8:9]                 // 000000006234: DD488000 00084858
	s_mov_b64 exec, s[36:37]                                   // 00000000623C: BEFE0124
	s_mov_b64 exec, s[28:29]                                   // 000000006240: BEFE011C
	global_atomic_pk_add_bf16 v88, v73, s[8:9] offset:256      // 000000006244: DD488100 00084958
	s_mov_b64 exec, s[36:37]                                   // 00000000624C: BEFE0124
	s_mov_b64 exec, s[30:31]                                   // 000000006250: BEFE011E
	global_atomic_pk_add_bf16 v90, v74, s[8:9]                 // 000000006254: DD488000 00084A5A
	s_mov_b64 exec, s[36:37]                                   // 00000000625C: BEFE0124
	s_mov_b64 exec, s[30:31]                                   // 000000006260: BEFE011E
	global_atomic_pk_add_bf16 v90, v75, s[8:9] offset:256      // 000000006264: DD488100 00084B5A
	s_mov_b64 exec, s[36:37]                                   // 00000000626C: BEFE0124
	s_mov_b64 exec, s[32:33]                                   // 000000006270: BEFE0120
	global_atomic_pk_add_bf16 v92, v76, s[8:9]                 // 000000006274: DD488000 00084C5C
	s_mov_b64 exec, s[36:37]                                   // 00000000627C: BEFE0124
	s_mov_b64 exec, s[32:33]                                   // 000000006280: BEFE0120
	global_atomic_pk_add_bf16 v92, v77, s[8:9] offset:256      // 000000006284: DD488100 00084D5C
	s_mov_b64 exec, s[36:37]                                   // 00000000628C: BEFE0124
	s_mov_b64 exec, s[34:35]                                   // 000000006290: BEFE0122
	global_atomic_pk_add_bf16 v94, v78, s[8:9]                 // 000000006294: DD488000 00084E5E
	s_mov_b64 exec, s[36:37]                                   // 00000000629C: BEFE0124
	s_mov_b64 exec, s[34:35]                                   // 0000000062A0: BEFE0122
	global_atomic_pk_add_bf16 v94, v79, s[8:9] offset:256      // 0000000062A4: DD488100 00084F5E
	s_mov_b64 exec, s[36:37]                                   // 0000000062AC: BEFE0124
	s_add_u32 s8, s59, s8                                      // 0000000062B0: 8008083B
	s_addc_u32 s9, 0, s9                                       // 0000000062B4: 82090980
	s_addk_i32 s80, 0x100                                      // 0000000062B8: B7500100
	s_cmp_lt_i32 s80, s81                                      // 0000000062BC: BF045150
	s_cbranch_scc0 label_0D32                                  // 0000000062C0: BF840001
	s_branch label_0829                                        // 0000000062C4: BF82FAF7

00000000000062c8 <label_0D32>:
	s_nop 0                                                    // 0000000062C8: BF800000
	s_nop 0                                                    // 0000000062CC: BF800000
	s_branch label_1812                                        // 0000000062D0: BF820ADD

00000000000062d4 <label_0D35>:
	s_waitcnt vmcnt(4) lgkmcnt(0)                              // 0000000062D4: BF8C0074
	s_barrier                                                  // 0000000062D8: BF8A0000
	v_mfma_i32_16x16x32_i8 v[128:131], a[0:1], v[152:153], v[128:131]// 0000000062DC: D3D70080 0E033100
	buffer_load_dwordx4 a[48:51], v32, s[92:95], 0 offen       // 0000000062E4: E05C1000 80973020
	v_mfma_i32_16x16x32_i8 v[128:131], a[2:3], v[154:155], v[128:131]// 0000000062EC: D3D70080 0E033502
	v_mfma_i32_16x16x32_i8 v[128:131], a[4:5], v[156:157], v[128:131]// 0000000062F4: D3D70080 0E033904
	buffer_load_dword v24, s[20:23], 0 offen lds               // 0000000062FC: E0511000 80050018
	s_add_u32 m0, 0x100, s51                                   // 000000006304: 807C33FF 00000100
	v_mfma_i32_16x16x32_i8 v[128:131], a[6:7], v[158:159], v[128:131]// 00000000630C: D3D70080 0E033D06
	v_mfma_i32_16x16x32_i8 v[128:131], a[8:9], v[160:161], v[128:131]// 000000006314: D3D70080 0E034108
	buffer_load_dwordx4 a[52:55], v32, s[92:95], 0 offen offset:1024// 00000000631C: E05C1400 80973420
	v_mfma_i32_16x16x32_i8 v[128:131], a[10:11], v[162:163], v[128:131]// 000000006324: D3D70080 0E03450A
	v_mfma_i32_16x16x32_i8 v[128:131], a[12:13], v[164:165], v[128:131]// 00000000632C: D3D70080 0E03490C
	buffer_load_dword v25, s[20:23], 0 offen lds               // 000000006334: E0511000 80050019
	s_add_u32 m0, 0x200, s51                                   // 00000000633C: 807C33FF 00000200
	v_mfma_i32_16x16x32_i8 v[128:131], a[14:15], v[166:167], v[128:131]// 000000006344: D3D70080 0E034D0E
	v_mfma_i32_16x16x32_i8 v[132:135], a[0:1], v[168:169], v[132:135]// 00000000634C: D3D70084 0E135100
	buffer_load_dwordx4 a[56:59], v32, s[92:95], 0 offen offset:2048// 000000006354: E05C1800 80973820
	v_mfma_i32_16x16x32_i8 v[132:135], a[2:3], v[170:171], v[132:135]// 00000000635C: D3D70084 0E135502
	v_mfma_i32_16x16x32_i8 v[132:135], a[4:5], v[172:173], v[132:135]// 000000006364: D3D70084 0E135904
	buffer_load_dword v26, s[20:23], 0 offen lds               // 00000000636C: E0511000 8005001A
	s_add_u32 m0, 0x300, s51                                   // 000000006374: 807C33FF 00000300
	v_mfma_i32_16x16x32_i8 v[132:135], a[6:7], v[174:175], v[132:135]// 00000000637C: D3D70084 0E135D06
	v_mfma_i32_16x16x32_i8 v[132:135], a[8:9], v[176:177], v[132:135]// 000000006384: D3D70084 0E136108
	buffer_load_dwordx4 a[60:63], v32, s[92:95], 0 offen offset:3072// 00000000638C: E05C1C00 80973C20
	v_mfma_i32_16x16x32_i8 v[132:135], a[10:11], v[178:179], v[132:135]// 000000006394: D3D70084 0E13650A
	v_mfma_i32_16x16x32_i8 v[132:135], a[12:13], v[180:181], v[132:135]// 00000000639C: D3D70084 0E13690C
	buffer_load_dword v27, s[20:23], 0 offen lds               // 0000000063A4: E0511000 8005001B
	s_add_u32 m0, 0x400, s51                                   // 0000000063AC: 807C33FF 00000400
	v_mfma_i32_16x16x32_i8 v[132:135], a[14:15], v[182:183], v[132:135]// 0000000063B4: D3D70084 0E136D0E
	v_mfma_i32_16x16x32_i8 v[136:139], a[16:17], v[152:153], v[136:139]// 0000000063BC: D3D70088 0E233110
	buffer_load_dwordx4 a[64:67], v33, s[92:95], 0 offen       // 0000000063C4: E05C1000 80974021
	v_mfma_i32_16x16x32_i8 v[136:139], a[18:19], v[154:155], v[136:139]// 0000000063CC: D3D70088 0E233512
	v_mfma_i32_16x16x32_i8 v[136:139], a[20:21], v[156:157], v[136:139]// 0000000063D4: D3D70088 0E233914
	buffer_load_dword v28, s[20:23], 0 offen lds               // 0000000063DC: E0511000 8005001C
	s_add_u32 m0, 0x500, s51                                   // 0000000063E4: 807C33FF 00000500
	v_mfma_i32_16x16x32_i8 v[136:139], a[22:23], v[158:159], v[136:139]// 0000000063EC: D3D70088 0E233D16
	v_mfma_i32_16x16x32_i8 v[136:139], a[24:25], v[160:161], v[136:139]// 0000000063F4: D3D70088 0E234118
	buffer_load_dwordx4 a[68:71], v33, s[92:95], 0 offen offset:1024// 0000000063FC: E05C1400 80974421
	v_mfma_i32_16x16x32_i8 v[136:139], a[26:27], v[162:163], v[136:139]// 000000006404: D3D70088 0E23451A
	v_mfma_i32_16x16x32_i8 v[136:139], a[28:29], v[164:165], v[136:139]// 00000000640C: D3D70088 0E23491C
	buffer_load_dword v29, s[20:23], 0 offen lds               // 000000006414: E0511000 8005001D
	s_add_u32 m0, 0x600, s51                                   // 00000000641C: 807C33FF 00000600
	v_mfma_i32_16x16x32_i8 v[136:139], a[30:31], v[166:167], v[136:139]// 000000006424: D3D70088 0E234D1E
	v_mfma_i32_16x16x32_i8 v[140:143], a[16:17], v[168:169], v[140:143]// 00000000642C: D3D7008C 0E335110
	buffer_load_dwordx4 a[72:75], v33, s[92:95], 0 offen offset:2048// 000000006434: E05C1800 80974821
	v_mfma_i32_16x16x32_i8 v[140:143], a[18:19], v[170:171], v[140:143]// 00000000643C: D3D7008C 0E335512
	v_mfma_i32_16x16x32_i8 v[140:143], a[20:21], v[172:173], v[140:143]// 000000006444: D3D7008C 0E335914
	buffer_load_dword v30, s[20:23], 0 offen lds               // 00000000644C: E0511000 8005001E
	s_add_u32 m0, 0x700, s51                                   // 000000006454: 807C33FF 00000700
	v_mfma_i32_16x16x32_i8 v[140:143], a[22:23], v[174:175], v[140:143]// 00000000645C: D3D7008C 0E335D16
	v_mfma_i32_16x16x32_i8 v[140:143], a[24:25], v[176:177], v[140:143]// 000000006464: D3D7008C 0E336118
	buffer_load_dwordx4 a[76:79], v33, s[92:95], 0 offen offset:3072// 00000000646C: E05C1C00 80974C21
	v_mfma_i32_16x16x32_i8 v[140:143], a[26:27], v[178:179], v[140:143]// 000000006474: D3D7008C 0E33651A
	v_mfma_i32_16x16x32_i8 v[140:143], a[28:29], v[180:181], v[140:143]// 00000000647C: D3D7008C 0E33691C
	buffer_load_dword v31, s[20:23], 0 offen lds               // 000000006484: E0511000 8005001F
	s_add_u32 m0, 0, s50                                       // 00000000648C: 807C3280
	v_mfma_i32_16x16x32_i8 v[140:143], a[30:31], v[182:183], v[140:143]// 000000006490: D3D7008C 0E336D1E
	s_waitcnt vmcnt(16)                                        // 000000006498: BF8C4F70
	v_mfma_i32_16x16x32_i8 v[144:147], a[32:33], v[152:153], v[144:147]// 00000000649C: D3D70090 0E433120
	buffer_load_dwordx4 a[80:83], v34, s[92:95], 0 offen       // 0000000064A4: E05C1000 80975022
	v_mfma_i32_16x16x32_i8 v[144:147], a[34:35], v[154:155], v[144:147]// 0000000064AC: D3D70090 0E433522
	v_mfma_i32_16x16x32_i8 v[144:147], a[36:37], v[156:157], v[144:147]// 0000000064B4: D3D70090 0E433924
	v_mfma_i32_16x16x32_i8 v[144:147], a[38:39], v[158:159], v[144:147]// 0000000064BC: D3D70090 0E433D26
	v_mfma_i32_16x16x32_i8 v[144:147], a[40:41], v[160:161], v[144:147]// 0000000064C4: D3D70090 0E434128
	buffer_load_dwordx4 a[84:87], v34, s[92:95], 0 offen offset:1024// 0000000064CC: E05C1400 80975422
	v_mfma_i32_16x16x32_i8 v[144:147], a[42:43], v[162:163], v[144:147]// 0000000064D4: D3D70090 0E43452A
	v_mfma_i32_16x16x32_i8 v[144:147], a[44:45], v[164:165], v[144:147]// 0000000064DC: D3D70090 0E43492C
	v_mfma_i32_16x16x32_i8 v[144:147], a[46:47], v[166:167], v[144:147]// 0000000064E4: D3D70090 0E434D2E
	v_mfma_i32_16x16x32_i8 v[148:151], a[32:33], v[168:169], v[148:151]// 0000000064EC: D3D70094 0E535120
	buffer_load_dwordx4 a[88:91], v34, s[92:95], 0 offen offset:2048// 0000000064F4: E05C1800 80975822
	v_mfma_i32_16x16x32_i8 v[148:151], a[34:35], v[170:171], v[148:151]// 0000000064FC: D3D70094 0E535522
	v_mfma_i32_16x16x32_i8 v[148:151], a[36:37], v[172:173], v[148:151]// 000000006504: D3D70094 0E535924
	v_mfma_i32_16x16x32_i8 v[148:151], a[38:39], v[174:175], v[148:151]// 00000000650C: D3D70094 0E535D26
	v_mfma_i32_16x16x32_i8 v[148:151], a[40:41], v[176:177], v[148:151]// 000000006514: D3D70094 0E536128
	buffer_load_dwordx4 a[92:95], v34, s[92:95], 0 offen offset:3072// 00000000651C: E05C1C00 80975C22
	v_mfma_i32_16x16x32_i8 v[148:151], a[42:43], v[178:179], v[148:151]// 000000006524: D3D70094 0E53652A
	v_mfma_i32_16x16x32_i8 v[148:151], a[44:45], v[180:181], v[148:151]// 00000000652C: D3D70094 0E53692C
	v_mfma_i32_16x16x32_i8 v[148:151], a[46:47], v[182:183], v[148:151]// 000000006534: D3D70094 0E536D2E
	s_waitcnt vmcnt(4)                                         // 00000000653C: BF8C0F74
	s_barrier                                                  // 000000006540: BF8A0000
	v_mfma_i32_16x16x32_i8 v[64:67], a[48:49], v[152:153], v[64:67]// 000000006544: D3D70040 0D033130
	buffer_load_dwordx4 a[0:3], v32, s[24:27], 0 offen         // 00000000654C: E05C1000 80860020
	v_mfma_i32_16x16x32_i8 v[64:67], a[50:51], v[154:155], v[64:67]// 000000006554: D3D70040 0D033532
	v_mfma_i32_16x16x32_i8 v[64:67], a[52:53], v[156:157], v[64:67]// 00000000655C: D3D70040 0D033934
	v_mfma_i32_16x16x32_i8 v[64:67], a[54:55], v[158:159], v[64:67]// 000000006564: D3D70040 0D033D36
	v_mfma_i32_16x16x32_i8 v[64:67], a[56:57], v[160:161], v[64:67]// 00000000656C: D3D70040 0D034138
	buffer_load_dwordx4 a[4:7], v32, s[24:27], 0 offen offset:1024// 000000006574: E05C1400 80860420
	v_mfma_i32_16x16x32_i8 v[64:67], a[58:59], v[162:163], v[64:67]// 00000000657C: D3D70040 0D03453A
	v_mfma_i32_16x16x32_i8 v[64:67], a[60:61], v[164:165], v[64:67]// 000000006584: D3D70040 0D03493C
	v_mfma_i32_16x16x32_i8 v[64:67], a[62:63], v[166:167], v[64:67]// 00000000658C: D3D70040 0D034D3E
	v_mfma_i32_16x16x32_i8 v[68:71], a[48:49], v[168:169], v[68:71]// 000000006594: D3D70044 0D135130
	buffer_load_dwordx4 a[8:11], v32, s[24:27], 0 offen offset:2048// 00000000659C: E05C1800 80860820
	v_mfma_i32_16x16x32_i8 v[68:71], a[50:51], v[170:171], v[68:71]// 0000000065A4: D3D70044 0D135532
	v_mfma_i32_16x16x32_i8 v[68:71], a[52:53], v[172:173], v[68:71]// 0000000065AC: D3D70044 0D135934
	v_mfma_i32_16x16x32_i8 v[68:71], a[54:55], v[174:175], v[68:71]// 0000000065B4: D3D70044 0D135D36
	v_mfma_i32_16x16x32_i8 v[68:71], a[56:57], v[176:177], v[68:71]// 0000000065BC: D3D70044 0D136138
	buffer_load_dwordx4 a[12:15], v32, s[24:27], 0 offen offset:3072// 0000000065C4: E05C1C00 80860C20
	v_mfma_i32_16x16x32_i8 v[68:71], a[58:59], v[178:179], v[68:71]// 0000000065CC: D3D70044 0D13653A
	v_mfma_i32_16x16x32_i8 v[68:71], a[60:61], v[180:181], v[68:71]// 0000000065D4: D3D70044 0D13693C
	v_mfma_i32_16x16x32_i8 v[68:71], a[62:63], v[182:183], v[68:71]// 0000000065DC: D3D70044 0D136D3E
	v_mfma_i32_16x16x32_i8 v[72:75], a[64:65], v[152:153], v[72:75]// 0000000065E4: D3D70048 0D233140
	buffer_load_dwordx4 a[16:19], v33, s[24:27], 0 offen       // 0000000065EC: E05C1000 80861021
	v_mfma_i32_16x16x32_i8 v[72:75], a[66:67], v[154:155], v[72:75]// 0000000065F4: D3D70048 0D233542
	v_mfma_i32_16x16x32_i8 v[72:75], a[68:69], v[156:157], v[72:75]// 0000000065FC: D3D70048 0D233944
	ds_read_b128 v[184:187], v2 offset:8320                    // 000000006604: D9FE2080 B8000002
	v_mfma_i32_16x16x32_i8 v[72:75], a[70:71], v[158:159], v[72:75]// 00000000660C: D3D70048 0D233D46
	v_mfma_i32_16x16x32_i8 v[72:75], a[72:73], v[160:161], v[72:75]// 000000006614: D3D70048 0D234148
	buffer_load_dwordx4 a[20:23], v33, s[24:27], 0 offen offset:1024// 00000000661C: E05C1400 80861421
	v_mfma_i32_16x16x32_i8 v[72:75], a[74:75], v[162:163], v[72:75]// 000000006624: D3D70048 0D23454A
	v_mfma_i32_16x16x32_i8 v[72:75], a[76:77], v[164:165], v[72:75]// 00000000662C: D3D70048 0D23494C
	ds_read_b128 v[188:191], v2 offset:8384                    // 000000006634: D9FE20C0 BC000002
	v_mfma_i32_16x16x32_i8 v[72:75], a[78:79], v[166:167], v[72:75]// 00000000663C: D3D70048 0D234D4E
	v_mfma_i32_16x16x32_i8 v[76:79], a[64:65], v[168:169], v[76:79]// 000000006644: D3D7004C 0D335140
	buffer_load_dwordx4 a[24:27], v33, s[24:27], 0 offen offset:2048// 00000000664C: E05C1800 80861821
	v_mfma_i32_16x16x32_i8 v[76:79], a[66:67], v[170:171], v[76:79]// 000000006654: D3D7004C 0D335542
	v_mfma_i32_16x16x32_i8 v[76:79], a[68:69], v[172:173], v[76:79]// 00000000665C: D3D7004C 0D335944
	ds_read_b128 v[192:195], v2 offset:8448                    // 000000006664: D9FE2100 C0000002
	v_mfma_i32_16x16x32_i8 v[76:79], a[70:71], v[174:175], v[76:79]// 00000000666C: D3D7004C 0D335D46
	v_mfma_i32_16x16x32_i8 v[76:79], a[72:73], v[176:177], v[76:79]// 000000006674: D3D7004C 0D336148
	buffer_load_dwordx4 a[28:31], v33, s[24:27], 0 offen offset:3072// 00000000667C: E05C1C00 80861C21
	v_mfma_i32_16x16x32_i8 v[76:79], a[74:75], v[178:179], v[76:79]// 000000006684: D3D7004C 0D33654A
	v_mfma_i32_16x16x32_i8 v[76:79], a[76:77], v[180:181], v[76:79]// 00000000668C: D3D7004C 0D33694C
	ds_read_b128 v[196:199], v2 offset:8512                    // 000000006694: D9FE2140 C4000002
	v_mfma_i32_16x16x32_i8 v[76:79], a[78:79], v[182:183], v[76:79]// 00000000669C: D3D7004C 0D336D4E
	s_waitcnt vmcnt(8)                                         // 0000000066A4: BF8C0F78
	v_mfma_i32_16x16x32_i8 v[80:83], a[80:81], v[152:153], v[80:83]// 0000000066A8: D3D70050 0D433150
	buffer_load_dwordx4 a[32:35], v34, s[24:27], 0 offen       // 0000000066B0: E05C1000 80862022
	v_mfma_i32_16x16x32_i8 v[80:83], a[82:83], v[154:155], v[80:83]// 0000000066B8: D3D70050 0D433552
	v_mfma_i32_16x16x32_i8 v[80:83], a[84:85], v[156:157], v[80:83]// 0000000066C0: D3D70050 0D433954
	ds_read_b128 v[200:203], v2 offset:9344                    // 0000000066C8: D9FE2480 C8000002
	v_mfma_i32_16x16x32_i8 v[80:83], a[86:87], v[158:159], v[80:83]// 0000000066D0: D3D70050 0D433D56
	v_mfma_i32_16x16x32_i8 v[80:83], a[88:89], v[160:161], v[80:83]// 0000000066D8: D3D70050 0D434158
	buffer_load_dwordx4 a[36:39], v34, s[24:27], 0 offen offset:1024// 0000000066E0: E05C1400 80862422
	v_mfma_i32_16x16x32_i8 v[80:83], a[90:91], v[162:163], v[80:83]// 0000000066E8: D3D70050 0D43455A
	v_mfma_i32_16x16x32_i8 v[80:83], a[92:93], v[164:165], v[80:83]// 0000000066F0: D3D70050 0D43495C
	ds_read_b128 v[204:207], v2 offset:9408                    // 0000000066F8: D9FE24C0 CC000002
	v_mfma_i32_16x16x32_i8 v[80:83], a[94:95], v[166:167], v[80:83]// 000000006700: D3D70050 0D434D5E
	v_mfma_i32_16x16x32_i8 v[84:87], a[80:81], v[168:169], v[84:87]// 000000006708: D3D70054 0D535150
	buffer_load_dwordx4 a[40:43], v34, s[24:27], 0 offen offset:2048// 000000006710: E05C1800 80862822
	v_mfma_i32_16x16x32_i8 v[84:87], a[82:83], v[170:171], v[84:87]// 000000006718: D3D70054 0D535552
	v_mfma_i32_16x16x32_i8 v[84:87], a[84:85], v[172:173], v[84:87]// 000000006720: D3D70054 0D535954
	ds_read_b128 v[208:211], v2 offset:9472                    // 000000006728: D9FE2500 D0000002
	v_mfma_i32_16x16x32_i8 v[84:87], a[86:87], v[174:175], v[84:87]// 000000006730: D3D70054 0D535D56
	v_mfma_i32_16x16x32_i8 v[84:87], a[88:89], v[176:177], v[84:87]// 000000006738: D3D70054 0D536158
	buffer_load_dwordx4 a[44:47], v34, s[24:27], 0 offen offset:3072// 000000006740: E05C1C00 80862C22
	v_mfma_i32_16x16x32_i8 v[84:87], a[90:91], v[178:179], v[84:87]// 000000006748: D3D70054 0D53655A
	v_mfma_i32_16x16x32_i8 v[84:87], a[92:93], v[180:181], v[84:87]// 000000006750: D3D70054 0D53695C
	ds_read_b128 v[212:215], v2 offset:9536                    // 000000006758: D9FE2540 D4000002
	v_mfma_i32_16x16x32_i8 v[84:87], a[94:95], v[182:183], v[84:87]// 000000006760: D3D70054 0D536D5E
	s_add_u32 s60, 0x200, s80                                  // 000000006768: 803C50FF 00000200
	s_cmp_lt_u32 s60, s81                                      // 000000006770: BF0A513C
	s_cselect_b32 s57, s57, 0                                  // 000000006774: 85398039
	s_add_u32 s60, 0x200, s80                                  // 000000006778: 803C50FF 00000200
	s_cmp_lt_u32 s60, s81                                      // 000000006780: BF0A513C
	s_cselect_b32 s58, s58, 0                                  // 000000006784: 853A803A
	s_add_u32 s20, s57, s20                                    // 000000006788: 80141439
	s_addc_u32 s21, 0, s21                                     // 00000000678C: 82151580
	s_add_u32 s24, s58, s24                                    // 000000006790: 8018183A
	s_addc_u32 s25, 0, s25                                     // 000000006794: 82191980
	s_add_u32 s92, s90, s92                                    // 000000006798: 805C5C5A
	s_addc_u32 s93, 0, s93                                     // 00000000679C: 825D5D80
	s_addk_i32 s80, 0x100                                      // 0000000067A0: B7500100
	s_cmp_lt_i32 s80, s81                                      // 0000000067A4: BF045150
	s_cbranch_scc0 label_0FA2                                  // 0000000067A8: BF840137
	s_waitcnt vmcnt(4) lgkmcnt(0)                              // 0000000067AC: BF8C0074
	s_barrier                                                  // 0000000067B0: BF8A0000
	v_mfma_i32_16x16x32_i8 v[128:131], a[0:1], v[184:185], v[128:131]// 0000000067B4: D3D70080 0E037100
	buffer_load_dwordx4 a[48:51], v32, s[92:95], 0 offen       // 0000000067BC: E05C1000 80973020
	v_mfma_i32_16x16x32_i8 v[128:131], a[2:3], v[186:187], v[128:131]// 0000000067C4: D3D70080 0E037502
	v_mfma_i32_16x16x32_i8 v[128:131], a[4:5], v[188:189], v[128:131]// 0000000067CC: D3D70080 0E037904
	buffer_load_dword v24, s[20:23], 0 offen lds               // 0000000067D4: E0511000 80050018
	s_add_u32 m0, 0x100, s50                                   // 0000000067DC: 807C32FF 00000100
	v_mfma_i32_16x16x32_i8 v[128:131], a[6:7], v[190:191], v[128:131]// 0000000067E4: D3D70080 0E037D06
	v_mfma_i32_16x16x32_i8 v[128:131], a[8:9], v[192:193], v[128:131]// 0000000067EC: D3D70080 0E038108
	buffer_load_dwordx4 a[52:55], v32, s[92:95], 0 offen offset:1024// 0000000067F4: E05C1400 80973420
	v_mfma_i32_16x16x32_i8 v[128:131], a[10:11], v[194:195], v[128:131]// 0000000067FC: D3D70080 0E03850A
	v_mfma_i32_16x16x32_i8 v[128:131], a[12:13], v[196:197], v[128:131]// 000000006804: D3D70080 0E03890C
	buffer_load_dword v25, s[20:23], 0 offen lds               // 00000000680C: E0511000 80050019
	s_add_u32 m0, 0x200, s50                                   // 000000006814: 807C32FF 00000200
	v_mfma_i32_16x16x32_i8 v[128:131], a[14:15], v[198:199], v[128:131]// 00000000681C: D3D70080 0E038D0E
	v_mfma_i32_16x16x32_i8 v[132:135], a[0:1], v[200:201], v[132:135]// 000000006824: D3D70084 0E139100
	buffer_load_dwordx4 a[56:59], v32, s[92:95], 0 offen offset:2048// 00000000682C: E05C1800 80973820
	v_mfma_i32_16x16x32_i8 v[132:135], a[2:3], v[202:203], v[132:135]// 000000006834: D3D70084 0E139502
	v_mfma_i32_16x16x32_i8 v[132:135], a[4:5], v[204:205], v[132:135]// 00000000683C: D3D70084 0E139904
	buffer_load_dword v26, s[20:23], 0 offen lds               // 000000006844: E0511000 8005001A
	s_add_u32 m0, 0x300, s50                                   // 00000000684C: 807C32FF 00000300
	v_mfma_i32_16x16x32_i8 v[132:135], a[6:7], v[206:207], v[132:135]// 000000006854: D3D70084 0E139D06
	v_mfma_i32_16x16x32_i8 v[132:135], a[8:9], v[208:209], v[132:135]// 00000000685C: D3D70084 0E13A108
	buffer_load_dwordx4 a[60:63], v32, s[92:95], 0 offen offset:3072// 000000006864: E05C1C00 80973C20
	v_mfma_i32_16x16x32_i8 v[132:135], a[10:11], v[210:211], v[132:135]// 00000000686C: D3D70084 0E13A50A
	v_mfma_i32_16x16x32_i8 v[132:135], a[12:13], v[212:213], v[132:135]// 000000006874: D3D70084 0E13A90C
	buffer_load_dword v27, s[20:23], 0 offen lds               // 00000000687C: E0511000 8005001B
	s_add_u32 m0, 0x400, s50                                   // 000000006884: 807C32FF 00000400
	v_mfma_i32_16x16x32_i8 v[132:135], a[14:15], v[214:215], v[132:135]// 00000000688C: D3D70084 0E13AD0E
	v_mfma_i32_16x16x32_i8 v[136:139], a[16:17], v[184:185], v[136:139]// 000000006894: D3D70088 0E237110
	buffer_load_dwordx4 a[64:67], v33, s[92:95], 0 offen       // 00000000689C: E05C1000 80974021
	v_mfma_i32_16x16x32_i8 v[136:139], a[18:19], v[186:187], v[136:139]// 0000000068A4: D3D70088 0E237512
	v_mfma_i32_16x16x32_i8 v[136:139], a[20:21], v[188:189], v[136:139]// 0000000068AC: D3D70088 0E237914
	buffer_load_dword v28, s[20:23], 0 offen lds               // 0000000068B4: E0511000 8005001C
	s_add_u32 m0, 0x500, s50                                   // 0000000068BC: 807C32FF 00000500
	v_mfma_i32_16x16x32_i8 v[136:139], a[22:23], v[190:191], v[136:139]// 0000000068C4: D3D70088 0E237D16
	v_mfma_i32_16x16x32_i8 v[136:139], a[24:25], v[192:193], v[136:139]// 0000000068CC: D3D70088 0E238118
	buffer_load_dwordx4 a[68:71], v33, s[92:95], 0 offen offset:1024// 0000000068D4: E05C1400 80974421
	v_mfma_i32_16x16x32_i8 v[136:139], a[26:27], v[194:195], v[136:139]// 0000000068DC: D3D70088 0E23851A
	v_mfma_i32_16x16x32_i8 v[136:139], a[28:29], v[196:197], v[136:139]// 0000000068E4: D3D70088 0E23891C
	buffer_load_dword v29, s[20:23], 0 offen lds               // 0000000068EC: E0511000 8005001D
	s_add_u32 m0, 0x600, s50                                   // 0000000068F4: 807C32FF 00000600
	v_mfma_i32_16x16x32_i8 v[136:139], a[30:31], v[198:199], v[136:139]// 0000000068FC: D3D70088 0E238D1E
	v_mfma_i32_16x16x32_i8 v[140:143], a[16:17], v[200:201], v[140:143]// 000000006904: D3D7008C 0E339110
	buffer_load_dwordx4 a[72:75], v33, s[92:95], 0 offen offset:2048// 00000000690C: E05C1800 80974821
	v_mfma_i32_16x16x32_i8 v[140:143], a[18:19], v[202:203], v[140:143]// 000000006914: D3D7008C 0E339512
	v_mfma_i32_16x16x32_i8 v[140:143], a[20:21], v[204:205], v[140:143]// 00000000691C: D3D7008C 0E339914
	buffer_load_dword v30, s[20:23], 0 offen lds               // 000000006924: E0511000 8005001E
	s_add_u32 m0, 0x700, s50                                   // 00000000692C: 807C32FF 00000700
	v_mfma_i32_16x16x32_i8 v[140:143], a[22:23], v[206:207], v[140:143]// 000000006934: D3D7008C 0E339D16
	v_mfma_i32_16x16x32_i8 v[140:143], a[24:25], v[208:209], v[140:143]// 00000000693C: D3D7008C 0E33A118
	buffer_load_dwordx4 a[76:79], v33, s[92:95], 0 offen offset:3072// 000000006944: E05C1C00 80974C21
	v_mfma_i32_16x16x32_i8 v[140:143], a[26:27], v[210:211], v[140:143]// 00000000694C: D3D7008C 0E33A51A
	v_mfma_i32_16x16x32_i8 v[140:143], a[28:29], v[212:213], v[140:143]// 000000006954: D3D7008C 0E33A91C
	buffer_load_dword v31, s[20:23], 0 offen lds               // 00000000695C: E0511000 8005001F
	s_add_u32 m0, 0, s51                                       // 000000006964: 807C3380
	v_mfma_i32_16x16x32_i8 v[140:143], a[30:31], v[214:215], v[140:143]// 000000006968: D3D7008C 0E33AD1E
	s_waitcnt vmcnt(16)                                        // 000000006970: BF8C4F70
	v_mfma_i32_16x16x32_i8 v[144:147], a[32:33], v[184:185], v[144:147]// 000000006974: D3D70090 0E437120
	buffer_load_dwordx4 a[80:83], v34, s[92:95], 0 offen       // 00000000697C: E05C1000 80975022
	v_mfma_i32_16x16x32_i8 v[144:147], a[34:35], v[186:187], v[144:147]// 000000006984: D3D70090 0E437522
	v_mfma_i32_16x16x32_i8 v[144:147], a[36:37], v[188:189], v[144:147]// 00000000698C: D3D70090 0E437924
	v_mfma_i32_16x16x32_i8 v[144:147], a[38:39], v[190:191], v[144:147]// 000000006994: D3D70090 0E437D26
	v_mfma_i32_16x16x32_i8 v[144:147], a[40:41], v[192:193], v[144:147]// 00000000699C: D3D70090 0E438128
	buffer_load_dwordx4 a[84:87], v34, s[92:95], 0 offen offset:1024// 0000000069A4: E05C1400 80975422
	v_mfma_i32_16x16x32_i8 v[144:147], a[42:43], v[194:195], v[144:147]// 0000000069AC: D3D70090 0E43852A
	v_mfma_i32_16x16x32_i8 v[144:147], a[44:45], v[196:197], v[144:147]// 0000000069B4: D3D70090 0E43892C
	v_mfma_i32_16x16x32_i8 v[144:147], a[46:47], v[198:199], v[144:147]// 0000000069BC: D3D70090 0E438D2E
	v_mfma_i32_16x16x32_i8 v[148:151], a[32:33], v[200:201], v[148:151]// 0000000069C4: D3D70094 0E539120
	buffer_load_dwordx4 a[88:91], v34, s[92:95], 0 offen offset:2048// 0000000069CC: E05C1800 80975822
	v_mfma_i32_16x16x32_i8 v[148:151], a[34:35], v[202:203], v[148:151]// 0000000069D4: D3D70094 0E539522
	v_mfma_i32_16x16x32_i8 v[148:151], a[36:37], v[204:205], v[148:151]// 0000000069DC: D3D70094 0E539924
	v_mfma_i32_16x16x32_i8 v[148:151], a[38:39], v[206:207], v[148:151]// 0000000069E4: D3D70094 0E539D26
	v_mfma_i32_16x16x32_i8 v[148:151], a[40:41], v[208:209], v[148:151]// 0000000069EC: D3D70094 0E53A128
	buffer_load_dwordx4 a[92:95], v34, s[92:95], 0 offen offset:3072// 0000000069F4: E05C1C00 80975C22
	v_mfma_i32_16x16x32_i8 v[148:151], a[42:43], v[210:211], v[148:151]// 0000000069FC: D3D70094 0E53A52A
	v_mfma_i32_16x16x32_i8 v[148:151], a[44:45], v[212:213], v[148:151]// 000000006A04: D3D70094 0E53A92C
	v_mfma_i32_16x16x32_i8 v[148:151], a[46:47], v[214:215], v[148:151]// 000000006A0C: D3D70094 0E53AD2E
	s_waitcnt vmcnt(4)                                         // 000000006A14: BF8C0F74
	s_barrier                                                  // 000000006A18: BF8A0000
	v_mfma_i32_16x16x32_i8 v[64:67], a[48:49], v[184:185], v[64:67]// 000000006A1C: D3D70040 0D037130
	buffer_load_dwordx4 a[0:3], v32, s[24:27], 0 offen         // 000000006A24: E05C1000 80860020
	v_mfma_i32_16x16x32_i8 v[64:67], a[50:51], v[186:187], v[64:67]// 000000006A2C: D3D70040 0D037532
	v_mfma_i32_16x16x32_i8 v[64:67], a[52:53], v[188:189], v[64:67]// 000000006A34: D3D70040 0D037934
	v_mfma_i32_16x16x32_i8 v[64:67], a[54:55], v[190:191], v[64:67]// 000000006A3C: D3D70040 0D037D36
	v_mfma_i32_16x16x32_i8 v[64:67], a[56:57], v[192:193], v[64:67]// 000000006A44: D3D70040 0D038138
	buffer_load_dwordx4 a[4:7], v32, s[24:27], 0 offen offset:1024// 000000006A4C: E05C1400 80860420
	v_mfma_i32_16x16x32_i8 v[64:67], a[58:59], v[194:195], v[64:67]// 000000006A54: D3D70040 0D03853A
	v_mfma_i32_16x16x32_i8 v[64:67], a[60:61], v[196:197], v[64:67]// 000000006A5C: D3D70040 0D03893C
	v_mfma_i32_16x16x32_i8 v[64:67], a[62:63], v[198:199], v[64:67]// 000000006A64: D3D70040 0D038D3E
	v_mfma_i32_16x16x32_i8 v[68:71], a[48:49], v[200:201], v[68:71]// 000000006A6C: D3D70044 0D139130
	buffer_load_dwordx4 a[8:11], v32, s[24:27], 0 offen offset:2048// 000000006A74: E05C1800 80860820
	v_mfma_i32_16x16x32_i8 v[68:71], a[50:51], v[202:203], v[68:71]// 000000006A7C: D3D70044 0D139532
	v_mfma_i32_16x16x32_i8 v[68:71], a[52:53], v[204:205], v[68:71]// 000000006A84: D3D70044 0D139934
	v_mfma_i32_16x16x32_i8 v[68:71], a[54:55], v[206:207], v[68:71]// 000000006A8C: D3D70044 0D139D36
	v_mfma_i32_16x16x32_i8 v[68:71], a[56:57], v[208:209], v[68:71]// 000000006A94: D3D70044 0D13A138
	buffer_load_dwordx4 a[12:15], v32, s[24:27], 0 offen offset:3072// 000000006A9C: E05C1C00 80860C20
	v_mfma_i32_16x16x32_i8 v[68:71], a[58:59], v[210:211], v[68:71]// 000000006AA4: D3D70044 0D13A53A
	v_mfma_i32_16x16x32_i8 v[68:71], a[60:61], v[212:213], v[68:71]// 000000006AAC: D3D70044 0D13A93C
	v_mfma_i32_16x16x32_i8 v[68:71], a[62:63], v[214:215], v[68:71]// 000000006AB4: D3D70044 0D13AD3E
	v_mfma_i32_16x16x32_i8 v[72:75], a[64:65], v[184:185], v[72:75]// 000000006ABC: D3D70048 0D237140
	buffer_load_dwordx4 a[16:19], v33, s[24:27], 0 offen       // 000000006AC4: E05C1000 80861021
	v_mfma_i32_16x16x32_i8 v[72:75], a[66:67], v[186:187], v[72:75]// 000000006ACC: D3D70048 0D237542
	v_mfma_i32_16x16x32_i8 v[72:75], a[68:69], v[188:189], v[72:75]// 000000006AD4: D3D70048 0D237944
	ds_read_b128 v[152:155], v2                                // 000000006ADC: D9FE0000 98000002
	v_mfma_i32_16x16x32_i8 v[72:75], a[70:71], v[190:191], v[72:75]// 000000006AE4: D3D70048 0D237D46
	v_mfma_i32_16x16x32_i8 v[72:75], a[72:73], v[192:193], v[72:75]// 000000006AEC: D3D70048 0D238148
	buffer_load_dwordx4 a[20:23], v33, s[24:27], 0 offen offset:1024// 000000006AF4: E05C1400 80861421
	v_mfma_i32_16x16x32_i8 v[72:75], a[74:75], v[194:195], v[72:75]// 000000006AFC: D3D70048 0D23854A
	v_mfma_i32_16x16x32_i8 v[72:75], a[76:77], v[196:197], v[72:75]// 000000006B04: D3D70048 0D23894C
	ds_read_b128 v[156:159], v2 offset:64                      // 000000006B0C: D9FE0040 9C000002
	v_mfma_i32_16x16x32_i8 v[72:75], a[78:79], v[198:199], v[72:75]// 000000006B14: D3D70048 0D238D4E
	v_mfma_i32_16x16x32_i8 v[76:79], a[64:65], v[200:201], v[76:79]// 000000006B1C: D3D7004C 0D339140
	buffer_load_dwordx4 a[24:27], v33, s[24:27], 0 offen offset:2048// 000000006B24: E05C1800 80861821
	v_mfma_i32_16x16x32_i8 v[76:79], a[66:67], v[202:203], v[76:79]// 000000006B2C: D3D7004C 0D339542
	v_mfma_i32_16x16x32_i8 v[76:79], a[68:69], v[204:205], v[76:79]// 000000006B34: D3D7004C 0D339944
	ds_read_b128 v[160:163], v2 offset:128                     // 000000006B3C: D9FE0080 A0000002
	v_mfma_i32_16x16x32_i8 v[76:79], a[70:71], v[206:207], v[76:79]// 000000006B44: D3D7004C 0D339D46
	v_mfma_i32_16x16x32_i8 v[76:79], a[72:73], v[208:209], v[76:79]// 000000006B4C: D3D7004C 0D33A148
	buffer_load_dwordx4 a[28:31], v33, s[24:27], 0 offen offset:3072// 000000006B54: E05C1C00 80861C21
	v_mfma_i32_16x16x32_i8 v[76:79], a[74:75], v[210:211], v[76:79]// 000000006B5C: D3D7004C 0D33A54A
	v_mfma_i32_16x16x32_i8 v[76:79], a[76:77], v[212:213], v[76:79]// 000000006B64: D3D7004C 0D33A94C
	ds_read_b128 v[164:167], v2 offset:192                     // 000000006B6C: D9FE00C0 A4000002
	v_mfma_i32_16x16x32_i8 v[76:79], a[78:79], v[214:215], v[76:79]// 000000006B74: D3D7004C 0D33AD4E
	s_waitcnt vmcnt(8)                                         // 000000006B7C: BF8C0F78
	v_mfma_i32_16x16x32_i8 v[80:83], a[80:81], v[184:185], v[80:83]// 000000006B80: D3D70050 0D437150
	buffer_load_dwordx4 a[32:35], v34, s[24:27], 0 offen       // 000000006B88: E05C1000 80862022
	v_mfma_i32_16x16x32_i8 v[80:83], a[82:83], v[186:187], v[80:83]// 000000006B90: D3D70050 0D437552
	v_mfma_i32_16x16x32_i8 v[80:83], a[84:85], v[188:189], v[80:83]// 000000006B98: D3D70050 0D437954
	ds_read_b128 v[168:171], v2 offset:1024                    // 000000006BA0: D9FE0400 A8000002
	v_mfma_i32_16x16x32_i8 v[80:83], a[86:87], v[190:191], v[80:83]// 000000006BA8: D3D70050 0D437D56
	v_mfma_i32_16x16x32_i8 v[80:83], a[88:89], v[192:193], v[80:83]// 000000006BB0: D3D70050 0D438158
	buffer_load_dwordx4 a[36:39], v34, s[24:27], 0 offen offset:1024// 000000006BB8: E05C1400 80862422
	v_mfma_i32_16x16x32_i8 v[80:83], a[90:91], v[194:195], v[80:83]// 000000006BC0: D3D70050 0D43855A
	v_mfma_i32_16x16x32_i8 v[80:83], a[92:93], v[196:197], v[80:83]// 000000006BC8: D3D70050 0D43895C
	ds_read_b128 v[172:175], v2 offset:1088                    // 000000006BD0: D9FE0440 AC000002
	v_mfma_i32_16x16x32_i8 v[80:83], a[94:95], v[198:199], v[80:83]// 000000006BD8: D3D70050 0D438D5E
	v_mfma_i32_16x16x32_i8 v[84:87], a[80:81], v[200:201], v[84:87]// 000000006BE0: D3D70054 0D539150
	buffer_load_dwordx4 a[40:43], v34, s[24:27], 0 offen offset:2048// 000000006BE8: E05C1800 80862822
	v_mfma_i32_16x16x32_i8 v[84:87], a[82:83], v[202:203], v[84:87]// 000000006BF0: D3D70054 0D539552
	v_mfma_i32_16x16x32_i8 v[84:87], a[84:85], v[204:205], v[84:87]// 000000006BF8: D3D70054 0D539954
	ds_read_b128 v[176:179], v2 offset:1152                    // 000000006C00: D9FE0480 B0000002
	v_mfma_i32_16x16x32_i8 v[84:87], a[86:87], v[206:207], v[84:87]// 000000006C08: D3D70054 0D539D56
	v_mfma_i32_16x16x32_i8 v[84:87], a[88:89], v[208:209], v[84:87]// 000000006C10: D3D70054 0D53A158
	buffer_load_dwordx4 a[44:47], v34, s[24:27], 0 offen offset:3072// 000000006C18: E05C1C00 80862C22
	v_mfma_i32_16x16x32_i8 v[84:87], a[90:91], v[210:211], v[84:87]// 000000006C20: D3D70054 0D53A55A
	v_mfma_i32_16x16x32_i8 v[84:87], a[92:93], v[212:213], v[84:87]// 000000006C28: D3D70054 0D53A95C
	ds_read_b128 v[180:183], v2 offset:1216                    // 000000006C30: D9FE04C0 B4000002
	v_mfma_i32_16x16x32_i8 v[84:87], a[94:95], v[214:215], v[84:87]// 000000006C38: D3D70054 0D53AD5E
	s_add_u32 s60, 0x200, s80                                  // 000000006C40: 803C50FF 00000200
	s_cmp_lt_u32 s60, s81                                      // 000000006C48: BF0A513C
	s_cselect_b32 s57, s57, 0                                  // 000000006C4C: 85398039
	s_add_u32 s60, 0x200, s80                                  // 000000006C50: 803C50FF 00000200
	s_cmp_lt_u32 s60, s81                                      // 000000006C58: BF0A513C
	s_cselect_b32 s58, s58, 0                                  // 000000006C5C: 853A803A
	s_add_u32 s20, s57, s20                                    // 000000006C60: 80141439
	s_addc_u32 s21, 0, s21                                     // 000000006C64: 82151580
	s_add_u32 s24, s58, s24                                    // 000000006C68: 8018183A
	s_addc_u32 s25, 0, s25                                     // 000000006C6C: 82191980
	s_add_u32 s92, s90, s92                                    // 000000006C70: 805C5C5A
	s_addc_u32 s93, 0, s93                                     // 000000006C74: 825D5D80
	s_addk_i32 s80, 0x100                                      // 000000006C78: B7500100
	s_cmp_lt_i32 s80, s81                                      // 000000006C7C: BF045150
	s_cbranch_scc0 label_0FA2                                  // 000000006C80: BF840001
	s_branch label_0D35                                        // 000000006C84: BF82FD93

0000000000006c88 <label_0FA2>:
	s_mov_b32 s36, -1                                          // 000000006C88: BEA400C1
	s_mov_b32 s37, -1                                          // 000000006C8C: BEA500C1
	s_mov_b64 s[60:61], 0                                      // 000000006C90: BEBC0180
	s_cmp_lt_u32 s82, s66                                      // 000000006C94: BF0A4252
	s_cselect_b64 s[20:21], s[36:37], s[60:61]                 // 000000006C98: 85943C24
	s_cmp_lt_u32 s83, s66                                      // 000000006C9C: BF0A4253
	s_cselect_b64 s[22:23], s[36:37], s[60:61]                 // 000000006CA0: 85963C24
	s_cmp_lt_u32 s84, s66                                      // 000000006CA4: BF0A4254
	s_cselect_b64 s[24:25], s[36:37], s[60:61]                 // 000000006CA8: 85983C24
	s_cmp_lt_u32 s85, s66                                      // 000000006CAC: BF0A4255
	s_cselect_b64 s[26:27], s[36:37], s[60:61]                 // 000000006CB0: 859A3C24
	s_cmp_lt_u32 s86, s66                                      // 000000006CB4: BF0A4256
	s_cselect_b64 s[28:29], s[36:37], s[60:61]                 // 000000006CB8: 859C3C24
	s_cmp_lt_u32 s87, s66                                      // 000000006CBC: BF0A4257
	s_cselect_b64 s[30:31], s[36:37], s[60:61]                 // 000000006CC0: 859E3C24
	s_cmp_lt_u32 s88, s66                                      // 000000006CC4: BF0A4258
	s_cselect_b64 s[32:33], s[36:37], s[60:61]                 // 000000006CC8: 85A03C24
	s_cmp_lt_u32 s89, s66                                      // 000000006CCC: BF0A4259
	s_cselect_b64 s[34:35], s[36:37], s[60:61]                 // 000000006CD0: 85A23C24
	v_cvt_f32_i32_e32 v128, v128                               // 000000006CD4: 7F000B80
	v_cvt_f32_i32_e32 v129, v129                               // 000000006CD8: 7F020B81
	v_cvt_f32_i32_e32 v130, v130                               // 000000006CDC: 7F040B82
	v_cvt_f32_i32_e32 v131, v131                               // 000000006CE0: 7F060B83
	v_mul_f32_e32 v128, v13, v128                              // 000000006CE4: 0B01010D
	v_mul_f32_e32 v129, v13, v129                              // 000000006CE8: 0B03030D
	v_mul_f32_e32 v130, v13, v130                              // 000000006CEC: 0B05050D
	v_mul_f32_e32 v131, v13, v131                              // 000000006CF0: 0B07070D
	v_mul_f32_dpp v128, v15, v128 row_newbcast:0 row_mask:0xf bank_mask:0xf// 000000006CF4: 0B0100FA FF01500F
	v_mul_f32_dpp v129, v15, v129 row_newbcast:1 row_mask:0xf bank_mask:0xf// 000000006CFC: 0B0302FA FF01510F
	v_mul_f32_dpp v130, v15, v130 row_newbcast:2 row_mask:0xf bank_mask:0xf// 000000006D04: 0B0504FA FF01520F
	v_mul_f32_dpp v131, v15, v131 row_newbcast:3 row_mask:0xf bank_mask:0xf// 000000006D0C: 0B0706FA FF01530F
	v_cvt_f32_i32_e32 v132, v132                               // 000000006D14: 7F080B84
	v_cvt_f32_i32_e32 v133, v133                               // 000000006D18: 7F0A0B85
	v_cvt_f32_i32_e32 v134, v134                               // 000000006D1C: 7F0C0B86
	v_cvt_f32_i32_e32 v135, v135                               // 000000006D20: 7F0E0B87
	v_mul_f32_e32 v132, v14, v132                              // 000000006D24: 0B09090E
	v_mul_f32_e32 v133, v14, v133                              // 000000006D28: 0B0B0B0E
	v_mul_f32_e32 v134, v14, v134                              // 000000006D2C: 0B0D0D0E
	v_mul_f32_e32 v135, v14, v135                              // 000000006D30: 0B0F0F0E
	v_mul_f32_dpp v132, v15, v132 row_newbcast:0 row_mask:0xf bank_mask:0xf// 000000006D34: 0B0908FA FF01500F
	v_mul_f32_dpp v133, v15, v133 row_newbcast:1 row_mask:0xf bank_mask:0xf// 000000006D3C: 0B0B0AFA FF01510F
	v_mul_f32_dpp v134, v15, v134 row_newbcast:2 row_mask:0xf bank_mask:0xf// 000000006D44: 0B0D0CFA FF01520F
	v_mul_f32_dpp v135, v15, v135 row_newbcast:3 row_mask:0xf bank_mask:0xf// 000000006D4C: 0B0F0EFA FF01530F
	v_cvt_f32_i32_e32 v136, v136                               // 000000006D54: 7F100B88
	v_cvt_f32_i32_e32 v137, v137                               // 000000006D58: 7F120B89
	v_cvt_f32_i32_e32 v138, v138                               // 000000006D5C: 7F140B8A
	v_cvt_f32_i32_e32 v139, v139                               // 000000006D60: 7F160B8B
	v_mul_f32_e32 v136, v13, v136                              // 000000006D64: 0B11110D
	v_mul_f32_e32 v137, v13, v137                              // 000000006D68: 0B13130D
	v_mul_f32_e32 v138, v13, v138                              // 000000006D6C: 0B15150D
	v_mul_f32_e32 v139, v13, v139                              // 000000006D70: 0B17170D
	v_mul_f32_dpp v136, v15, v136 row_newbcast:4 row_mask:0xf bank_mask:0xf// 000000006D74: 0B1110FA FF01540F
	v_mul_f32_dpp v137, v15, v137 row_newbcast:5 row_mask:0xf bank_mask:0xf// 000000006D7C: 0B1312FA FF01550F
	v_mul_f32_dpp v138, v15, v138 row_newbcast:6 row_mask:0xf bank_mask:0xf// 000000006D84: 0B1514FA FF01560F
	v_mul_f32_dpp v139, v15, v139 row_newbcast:7 row_mask:0xf bank_mask:0xf// 000000006D8C: 0B1716FA FF01570F
	v_cvt_f32_i32_e32 v140, v140                               // 000000006D94: 7F180B8C
	v_cvt_f32_i32_e32 v141, v141                               // 000000006D98: 7F1A0B8D
	v_cvt_f32_i32_e32 v142, v142                               // 000000006D9C: 7F1C0B8E
	v_cvt_f32_i32_e32 v143, v143                               // 000000006DA0: 7F1E0B8F
	v_mul_f32_e32 v140, v14, v140                              // 000000006DA4: 0B19190E
	v_mul_f32_e32 v141, v14, v141                              // 000000006DA8: 0B1B1B0E
	v_mul_f32_e32 v142, v14, v142                              // 000000006DAC: 0B1D1D0E
	v_mul_f32_e32 v143, v14, v143                              // 000000006DB0: 0B1F1F0E
	v_mul_f32_dpp v140, v15, v140 row_newbcast:4 row_mask:0xf bank_mask:0xf// 000000006DB4: 0B1918FA FF01540F
	v_mul_f32_dpp v141, v15, v141 row_newbcast:5 row_mask:0xf bank_mask:0xf// 000000006DBC: 0B1B1AFA FF01550F
	v_mul_f32_dpp v142, v15, v142 row_newbcast:6 row_mask:0xf bank_mask:0xf// 000000006DC4: 0B1D1CFA FF01560F
	v_mul_f32_dpp v143, v15, v143 row_newbcast:7 row_mask:0xf bank_mask:0xf// 000000006DCC: 0B1F1EFA FF01570F
	v_cvt_f32_i32_e32 v144, v144                               // 000000006DD4: 7F200B90
	v_cvt_f32_i32_e32 v145, v145                               // 000000006DD8: 7F220B91
	v_cvt_f32_i32_e32 v146, v146                               // 000000006DDC: 7F240B92
	v_cvt_f32_i32_e32 v147, v147                               // 000000006DE0: 7F260B93
	v_mul_f32_e32 v144, v13, v144                              // 000000006DE4: 0B21210D
	v_mul_f32_e32 v145, v13, v145                              // 000000006DE8: 0B23230D
	v_mul_f32_e32 v146, v13, v146                              // 000000006DEC: 0B25250D
	v_mul_f32_e32 v147, v13, v147                              // 000000006DF0: 0B27270D
	v_mul_f32_dpp v144, v15, v144 row_newbcast:8 row_mask:0xf bank_mask:0xf// 000000006DF4: 0B2120FA FF01580F
	v_mul_f32_dpp v145, v15, v145 row_newbcast:9 row_mask:0xf bank_mask:0xf// 000000006DFC: 0B2322FA FF01590F
	v_mul_f32_dpp v146, v15, v146 row_newbcast:10 row_mask:0xf bank_mask:0xf// 000000006E04: 0B2524FA FF015A0F
	v_mul_f32_dpp v147, v15, v147 row_newbcast:11 row_mask:0xf bank_mask:0xf// 000000006E0C: 0B2726FA FF015B0F
	v_cvt_f32_i32_e32 v148, v148                               // 000000006E14: 7F280B94
	v_cvt_f32_i32_e32 v149, v149                               // 000000006E18: 7F2A0B95
	v_cvt_f32_i32_e32 v150, v150                               // 000000006E1C: 7F2C0B96
	v_cvt_f32_i32_e32 v151, v151                               // 000000006E20: 7F2E0B97
	v_mul_f32_e32 v148, v14, v148                              // 000000006E24: 0B29290E
	v_mul_f32_e32 v149, v14, v149                              // 000000006E28: 0B2B2B0E
	v_mul_f32_e32 v150, v14, v150                              // 000000006E2C: 0B2D2D0E
	v_mul_f32_e32 v151, v14, v151                              // 000000006E30: 0B2F2F0E
	v_mul_f32_dpp v148, v15, v148 row_newbcast:8 row_mask:0xf bank_mask:0xf// 000000006E34: 0B2928FA FF01580F
	v_mul_f32_dpp v149, v15, v149 row_newbcast:9 row_mask:0xf bank_mask:0xf// 000000006E3C: 0B2B2AFA FF01590F
	v_mul_f32_dpp v150, v15, v150 row_newbcast:10 row_mask:0xf bank_mask:0xf// 000000006E44: 0B2D2CFA FF015A0F
	v_mul_f32_dpp v151, v15, v151 row_newbcast:11 row_mask:0xf bank_mask:0xf// 000000006E4C: 0B2F2EFA FF015B0F
	v_cvt_f32_i32_e32 v64, v64                                 // 000000006E54: 7E800B40
	v_cvt_f32_i32_e32 v65, v65                                 // 000000006E58: 7E820B41
	v_cvt_f32_i32_e32 v66, v66                                 // 000000006E5C: 7E840B42
	v_cvt_f32_i32_e32 v67, v67                                 // 000000006E60: 7E860B43
	v_mul_f32_e32 v64, v13, v64                                // 000000006E64: 0A80810D
	v_mul_f32_e32 v65, v13, v65                                // 000000006E68: 0A82830D
	v_mul_f32_e32 v66, v13, v66                                // 000000006E6C: 0A84850D
	v_mul_f32_e32 v67, v13, v67                                // 000000006E70: 0A86870D
	v_mul_f32_dpp v64, v43, v64 row_newbcast:0 row_mask:0xf bank_mask:0xf// 000000006E74: 0A8080FA FF01502B
	v_mul_f32_dpp v65, v43, v65 row_newbcast:1 row_mask:0xf bank_mask:0xf// 000000006E7C: 0A8282FA FF01512B
	v_mul_f32_dpp v66, v43, v66 row_newbcast:2 row_mask:0xf bank_mask:0xf// 000000006E84: 0A8484FA FF01522B
	v_mul_f32_dpp v67, v43, v67 row_newbcast:3 row_mask:0xf bank_mask:0xf// 000000006E8C: 0A8686FA FF01532B
	v_cvt_f32_i32_e32 v68, v68                                 // 000000006E94: 7E880B44
	v_cvt_f32_i32_e32 v69, v69                                 // 000000006E98: 7E8A0B45
	v_cvt_f32_i32_e32 v70, v70                                 // 000000006E9C: 7E8C0B46
	v_cvt_f32_i32_e32 v71, v71                                 // 000000006EA0: 7E8E0B47
	v_mul_f32_e32 v68, v14, v68                                // 000000006EA4: 0A88890E
	v_mul_f32_e32 v69, v14, v69                                // 000000006EA8: 0A8A8B0E
	v_mul_f32_e32 v70, v14, v70                                // 000000006EAC: 0A8C8D0E
	v_mul_f32_e32 v71, v14, v71                                // 000000006EB0: 0A8E8F0E
	v_mul_f32_dpp v68, v43, v68 row_newbcast:0 row_mask:0xf bank_mask:0xf// 000000006EB4: 0A8888FA FF01502B
	v_mul_f32_dpp v69, v43, v69 row_newbcast:1 row_mask:0xf bank_mask:0xf// 000000006EBC: 0A8A8AFA FF01512B
	v_mul_f32_dpp v70, v43, v70 row_newbcast:2 row_mask:0xf bank_mask:0xf// 000000006EC4: 0A8C8CFA FF01522B
	v_mul_f32_dpp v71, v43, v71 row_newbcast:3 row_mask:0xf bank_mask:0xf// 000000006ECC: 0A8E8EFA FF01532B
	v_cvt_f32_i32_e32 v72, v72                                 // 000000006ED4: 7E900B48
	v_cvt_f32_i32_e32 v73, v73                                 // 000000006ED8: 7E920B49
	v_cvt_f32_i32_e32 v74, v74                                 // 000000006EDC: 7E940B4A
	v_cvt_f32_i32_e32 v75, v75                                 // 000000006EE0: 7E960B4B
	v_mul_f32_e32 v72, v13, v72                                // 000000006EE4: 0A90910D
	v_mul_f32_e32 v73, v13, v73                                // 000000006EE8: 0A92930D
	v_mul_f32_e32 v74, v13, v74                                // 000000006EEC: 0A94950D
	v_mul_f32_e32 v75, v13, v75                                // 000000006EF0: 0A96970D
	v_mul_f32_dpp v72, v43, v72 row_newbcast:4 row_mask:0xf bank_mask:0xf// 000000006EF4: 0A9090FA FF01542B
	v_mul_f32_dpp v73, v43, v73 row_newbcast:5 row_mask:0xf bank_mask:0xf// 000000006EFC: 0A9292FA FF01552B
	v_mul_f32_dpp v74, v43, v74 row_newbcast:6 row_mask:0xf bank_mask:0xf// 000000006F04: 0A9494FA FF01562B
	v_mul_f32_dpp v75, v43, v75 row_newbcast:7 row_mask:0xf bank_mask:0xf// 000000006F0C: 0A9696FA FF01572B
	v_cvt_f32_i32_e32 v76, v76                                 // 000000006F14: 7E980B4C
	v_cvt_f32_i32_e32 v77, v77                                 // 000000006F18: 7E9A0B4D
	v_cvt_f32_i32_e32 v78, v78                                 // 000000006F1C: 7E9C0B4E
	v_cvt_f32_i32_e32 v79, v79                                 // 000000006F20: 7E9E0B4F
	v_mul_f32_e32 v76, v14, v76                                // 000000006F24: 0A98990E
	v_mul_f32_e32 v77, v14, v77                                // 000000006F28: 0A9A9B0E
	v_mul_f32_e32 v78, v14, v78                                // 000000006F2C: 0A9C9D0E
	v_mul_f32_e32 v79, v14, v79                                // 000000006F30: 0A9E9F0E
	v_mul_f32_dpp v76, v43, v76 row_newbcast:4 row_mask:0xf bank_mask:0xf// 000000006F34: 0A9898FA FF01542B
	v_mul_f32_dpp v77, v43, v77 row_newbcast:5 row_mask:0xf bank_mask:0xf// 000000006F3C: 0A9A9AFA FF01552B
	v_mul_f32_dpp v78, v43, v78 row_newbcast:6 row_mask:0xf bank_mask:0xf// 000000006F44: 0A9C9CFA FF01562B
	v_mul_f32_dpp v79, v43, v79 row_newbcast:7 row_mask:0xf bank_mask:0xf// 000000006F4C: 0A9E9EFA FF01572B
	v_cvt_f32_i32_e32 v80, v80                                 // 000000006F54: 7EA00B50
	v_cvt_f32_i32_e32 v81, v81                                 // 000000006F58: 7EA20B51
	v_cvt_f32_i32_e32 v82, v82                                 // 000000006F5C: 7EA40B52
	v_cvt_f32_i32_e32 v83, v83                                 // 000000006F60: 7EA60B53
	v_mul_f32_e32 v80, v13, v80                                // 000000006F64: 0AA0A10D
	v_mul_f32_e32 v81, v13, v81                                // 000000006F68: 0AA2A30D
	v_mul_f32_e32 v82, v13, v82                                // 000000006F6C: 0AA4A50D
	v_mul_f32_e32 v83, v13, v83                                // 000000006F70: 0AA6A70D
	v_mul_f32_dpp v80, v43, v80 row_newbcast:8 row_mask:0xf bank_mask:0xf// 000000006F74: 0AA0A0FA FF01582B
	v_mul_f32_dpp v81, v43, v81 row_newbcast:9 row_mask:0xf bank_mask:0xf// 000000006F7C: 0AA2A2FA FF01592B
	v_mul_f32_dpp v82, v43, v82 row_newbcast:10 row_mask:0xf bank_mask:0xf// 000000006F84: 0AA4A4FA FF015A2B
	v_mul_f32_dpp v83, v43, v83 row_newbcast:11 row_mask:0xf bank_mask:0xf// 000000006F8C: 0AA6A6FA FF015B2B
	v_cvt_f32_i32_e32 v84, v84                                 // 000000006F94: 7EA80B54
	v_cvt_f32_i32_e32 v85, v85                                 // 000000006F98: 7EAA0B55
	v_cvt_f32_i32_e32 v86, v86                                 // 000000006F9C: 7EAC0B56
	v_cvt_f32_i32_e32 v87, v87                                 // 000000006FA0: 7EAE0B57
	v_mul_f32_e32 v84, v14, v84                                // 000000006FA4: 0AA8A90E
	v_mul_f32_e32 v85, v14, v85                                // 000000006FA8: 0AAAAB0E
	v_mul_f32_e32 v86, v14, v86                                // 000000006FAC: 0AACAD0E
	v_mul_f32_e32 v87, v14, v87                                // 000000006FB0: 0AAEAF0E
	v_mul_f32_dpp v84, v43, v84 row_newbcast:8 row_mask:0xf bank_mask:0xf// 000000006FB4: 0AA8A8FA FF01582B
	v_mul_f32_dpp v85, v43, v85 row_newbcast:9 row_mask:0xf bank_mask:0xf// 000000006FBC: 0AAAAAFA FF01592B
	v_mul_f32_dpp v86, v43, v86 row_newbcast:10 row_mask:0xf bank_mask:0xf// 000000006FC4: 0AACACFA FF015A2B
	v_mul_f32_dpp v87, v43, v87 row_newbcast:11 row_mask:0xf bank_mask:0xf// 000000006FCC: 0AAEAEFA FF015B2B
	s_waitcnt vmcnt(8)                                         // 000000006FD4: BF8C0F78
	buffer_load_dwordx4 a[0:3], v35, s[12:15], 0 offen         // 000000006FD8: E05C1000 80830023
	v_mul_f32_e32 v44, v128, v128                              // 000000006FE0: 0A590180
	v_mul_f32_e32 v45, v129, v129                              // 000000006FE4: 0A5B0381
	v_mul_f32_e32 v46, v130, v130                              // 000000006FE8: 0A5D0582
	v_mul_f32_e32 v47, v131, v131                              // 000000006FEC: 0A5F0783
	v_fma_f32 v44, v44, s77, v1                                // 000000006FF0: D1CB002C 04049B2C
	v_fma_f32 v45, v45, s77, v1                                // 000000006FF8: D1CB002D 04049B2D
	v_fma_f32 v46, v46, s77, v1                                // 000000007000: D1CB002E 04049B2E
	v_fma_f32 v47, v47, s77, v1                                // 000000007008: D1CB002F 04049B2F
	v_mul_f32_e32 v44, v44, v128                               // 000000007010: 0A59012C
	v_mul_f32_e32 v45, v45, v129                               // 000000007014: 0A5B032D
	v_mul_f32_e32 v46, v46, v130                               // 000000007018: 0A5D052E
	v_mul_f32_e32 v47, v47, v131                               // 00000000701C: 0A5F072F
	v_mul_f32_e64 v44, v44, s6                                 // 000000007020: D105002C 00000D2C
	v_mul_f32_e64 v45, v45, s6                                 // 000000007028: D105002D 00000D2D
	v_mul_f32_e64 v46, v46, s6                                 // 000000007030: D105002E 00000D2E
	v_mul_f32_e64 v47, v47, s6                                 // 000000007038: D105002F 00000D2F
	v_exp_f32_e32 v44, v44                                     // 000000007040: 7E58412C
	v_exp_f32_e32 v45, v45                                     // 000000007044: 7E5A412D
	v_exp_f32_e32 v46, v46                                     // 000000007048: 7E5C412E
	v_exp_f32_e32 v47, v47                                     // 00000000704C: 7E5E412F
	buffer_load_dwordx4 a[4:7], v36, s[12:15], 0 offen         // 000000007050: E05C1000 80830424
	v_add_f32_e64 v44, v44, 1.0                                // 000000007058: D101002C 0001E52C
	v_add_f32_e64 v45, v45, 1.0                                // 000000007060: D101002D 0001E52D
	v_add_f32_e64 v46, v46, 1.0                                // 000000007068: D101002E 0001E52E
	v_add_f32_e64 v47, v47, 1.0                                // 000000007070: D101002F 0001E52F
	v_rcp_f32_e32 v44, v44                                     // 000000007078: 7E58452C
	v_rcp_f32_e32 v45, v45                                     // 00000000707C: 7E5A452D
	v_rcp_f32_e32 v46, v46                                     // 000000007080: 7E5C452E
	v_rcp_f32_e32 v47, v47                                     // 000000007084: 7E5E452F
	v_mul_f32_e32 v128, v128, v44                              // 000000007088: 0B005980
	v_mul_f32_e32 v129, v129, v45                              // 00000000708C: 0B025B81
	v_mul_f32_e32 v130, v130, v46                              // 000000007090: 0B045D82
	v_mul_f32_e32 v131, v131, v47                              // 000000007094: 0B065F83
	v_mul_f32_e32 v128, v128, v64                              // 000000007098: 0B008180
	v_mul_f32_e32 v129, v129, v65                              // 00000000709C: 0B028381
	v_mul_f32_e32 v130, v130, v66                              // 0000000070A0: 0B048582
	v_mul_f32_e32 v131, v131, v67                              // 0000000070A4: 0B068783
	buffer_load_dwordx4 a[8:11], v37, s[12:15], 0 offen        // 0000000070A8: E05C1000 80830825
	v_mul_f32_e32 v44, v132, v132                              // 0000000070B0: 0A590984
	v_mul_f32_e32 v45, v133, v133                              // 0000000070B4: 0A5B0B85
	v_mul_f32_e32 v46, v134, v134                              // 0000000070B8: 0A5D0D86
	v_mul_f32_e32 v47, v135, v135                              // 0000000070BC: 0A5F0F87
	v_fma_f32 v44, v44, s77, v1                                // 0000000070C0: D1CB002C 04049B2C
	v_fma_f32 v45, v45, s77, v1                                // 0000000070C8: D1CB002D 04049B2D
	v_fma_f32 v46, v46, s77, v1                                // 0000000070D0: D1CB002E 04049B2E
	v_fma_f32 v47, v47, s77, v1                                // 0000000070D8: D1CB002F 04049B2F
	v_mul_f32_e32 v44, v44, v132                               // 0000000070E0: 0A59092C
	v_mul_f32_e32 v45, v45, v133                               // 0000000070E4: 0A5B0B2D
	v_mul_f32_e32 v46, v46, v134                               // 0000000070E8: 0A5D0D2E
	v_mul_f32_e32 v47, v47, v135                               // 0000000070EC: 0A5F0F2F
	v_mul_f32_e64 v44, v44, s6                                 // 0000000070F0: D105002C 00000D2C
	v_mul_f32_e64 v45, v45, s6                                 // 0000000070F8: D105002D 00000D2D
	v_mul_f32_e64 v46, v46, s6                                 // 000000007100: D105002E 00000D2E
	v_mul_f32_e64 v47, v47, s6                                 // 000000007108: D105002F 00000D2F
	v_exp_f32_e32 v44, v44                                     // 000000007110: 7E58412C
	v_exp_f32_e32 v45, v45                                     // 000000007114: 7E5A412D
	v_exp_f32_e32 v46, v46                                     // 000000007118: 7E5C412E
	v_exp_f32_e32 v47, v47                                     // 00000000711C: 7E5E412F
	buffer_load_dwordx4 a[12:15], v38, s[12:15], 0 offen       // 000000007120: E05C1000 80830C26
	s_add_u32 s12, s78, s12                                    // 000000007128: 800C0C4E
	s_addc_u32 s13, 0, s13                                     // 00000000712C: 820D0D80
	v_add_f32_e64 v44, v44, 1.0                                // 000000007130: D101002C 0001E52C
	v_add_f32_e64 v45, v45, 1.0                                // 000000007138: D101002D 0001E52D
	v_add_f32_e64 v46, v46, 1.0                                // 000000007140: D101002E 0001E52E
	v_add_f32_e64 v47, v47, 1.0                                // 000000007148: D101002F 0001E52F
	v_rcp_f32_e32 v44, v44                                     // 000000007150: 7E58452C
	v_rcp_f32_e32 v45, v45                                     // 000000007154: 7E5A452D
	v_rcp_f32_e32 v46, v46                                     // 000000007158: 7E5C452E
	v_rcp_f32_e32 v47, v47                                     // 00000000715C: 7E5E452F
	v_mul_f32_e32 v132, v132, v44                              // 000000007160: 0B085984
	v_mul_f32_e32 v133, v133, v45                              // 000000007164: 0B0A5B85
	v_mul_f32_e32 v134, v134, v46                              // 000000007168: 0B0C5D86
	v_mul_f32_e32 v135, v135, v47                              // 00000000716C: 0B0E5F87
	v_mul_f32_e32 v132, v132, v68                              // 000000007170: 0B088984
	v_mul_f32_e32 v133, v133, v69                              // 000000007174: 0B0A8B85
	v_mul_f32_e32 v134, v134, v70                              // 000000007178: 0B0C8D86
	v_mul_f32_e32 v135, v135, v71                              // 00000000717C: 0B0E8F87
	s_waitcnt vmcnt(8)                                         // 000000007180: BF8C0F78
	buffer_load_dwordx4 a[16:19], v35, s[12:15], 0 offen       // 000000007184: E05C1000 80831023
	v_mul_f32_e32 v44, v136, v136                              // 00000000718C: 0A591188
	v_mul_f32_e32 v45, v137, v137                              // 000000007190: 0A5B1389
	v_mul_f32_e32 v46, v138, v138                              // 000000007194: 0A5D158A
	v_mul_f32_e32 v47, v139, v139                              // 000000007198: 0A5F178B
	v_fma_f32 v44, v44, s77, v1                                // 00000000719C: D1CB002C 04049B2C
	v_fma_f32 v45, v45, s77, v1                                // 0000000071A4: D1CB002D 04049B2D
	v_fma_f32 v46, v46, s77, v1                                // 0000000071AC: D1CB002E 04049B2E
	v_fma_f32 v47, v47, s77, v1                                // 0000000071B4: D1CB002F 04049B2F
	v_mul_f32_e32 v44, v44, v136                               // 0000000071BC: 0A59112C
	v_mul_f32_e32 v45, v45, v137                               // 0000000071C0: 0A5B132D
	v_mul_f32_e32 v46, v46, v138                               // 0000000071C4: 0A5D152E
	v_mul_f32_e32 v47, v47, v139                               // 0000000071C8: 0A5F172F
	v_mul_f32_e64 v44, v44, s6                                 // 0000000071CC: D105002C 00000D2C
	v_mul_f32_e64 v45, v45, s6                                 // 0000000071D4: D105002D 00000D2D
	v_mul_f32_e64 v46, v46, s6                                 // 0000000071DC: D105002E 00000D2E
	v_mul_f32_e64 v47, v47, s6                                 // 0000000071E4: D105002F 00000D2F
	v_exp_f32_e32 v44, v44                                     // 0000000071EC: 7E58412C
	v_exp_f32_e32 v45, v45                                     // 0000000071F0: 7E5A412D
	v_exp_f32_e32 v46, v46                                     // 0000000071F4: 7E5C412E
	v_exp_f32_e32 v47, v47                                     // 0000000071F8: 7E5E412F
	buffer_load_dwordx4 a[20:23], v36, s[12:15], 0 offen       // 0000000071FC: E05C1000 80831424
	v_add_f32_e64 v44, v44, 1.0                                // 000000007204: D101002C 0001E52C
	v_add_f32_e64 v45, v45, 1.0                                // 00000000720C: D101002D 0001E52D
	v_add_f32_e64 v46, v46, 1.0                                // 000000007214: D101002E 0001E52E
	v_add_f32_e64 v47, v47, 1.0                                // 00000000721C: D101002F 0001E52F
	v_rcp_f32_e32 v44, v44                                     // 000000007224: 7E58452C
	v_rcp_f32_e32 v45, v45                                     // 000000007228: 7E5A452D
	v_rcp_f32_e32 v46, v46                                     // 00000000722C: 7E5C452E
	v_rcp_f32_e32 v47, v47                                     // 000000007230: 7E5E452F
	v_mul_f32_e32 v136, v136, v44                              // 000000007234: 0B105988
	v_mul_f32_e32 v137, v137, v45                              // 000000007238: 0B125B89
	v_mul_f32_e32 v138, v138, v46                              // 00000000723C: 0B145D8A
	v_mul_f32_e32 v139, v139, v47                              // 000000007240: 0B165F8B
	v_mul_f32_e32 v136, v136, v72                              // 000000007244: 0B109188
	v_mul_f32_e32 v137, v137, v73                              // 000000007248: 0B129389
	v_mul_f32_e32 v138, v138, v74                              // 00000000724C: 0B14958A
	v_mul_f32_e32 v139, v139, v75                              // 000000007250: 0B16978B
	buffer_load_dwordx4 a[24:27], v37, s[12:15], 0 offen       // 000000007254: E05C1000 80831825
	v_mul_f32_e32 v44, v140, v140                              // 00000000725C: 0A59198C
	v_mul_f32_e32 v45, v141, v141                              // 000000007260: 0A5B1B8D
	v_mul_f32_e32 v46, v142, v142                              // 000000007264: 0A5D1D8E
	v_mul_f32_e32 v47, v143, v143                              // 000000007268: 0A5F1F8F
	v_fma_f32 v44, v44, s77, v1                                // 00000000726C: D1CB002C 04049B2C
	v_fma_f32 v45, v45, s77, v1                                // 000000007274: D1CB002D 04049B2D
	v_fma_f32 v46, v46, s77, v1                                // 00000000727C: D1CB002E 04049B2E
	v_fma_f32 v47, v47, s77, v1                                // 000000007284: D1CB002F 04049B2F
	v_mul_f32_e32 v44, v44, v140                               // 00000000728C: 0A59192C
	v_mul_f32_e32 v45, v45, v141                               // 000000007290: 0A5B1B2D
	v_mul_f32_e32 v46, v46, v142                               // 000000007294: 0A5D1D2E
	v_mul_f32_e32 v47, v47, v143                               // 000000007298: 0A5F1F2F
	v_mul_f32_e64 v44, v44, s6                                 // 00000000729C: D105002C 00000D2C
	v_mul_f32_e64 v45, v45, s6                                 // 0000000072A4: D105002D 00000D2D
	v_mul_f32_e64 v46, v46, s6                                 // 0000000072AC: D105002E 00000D2E
	v_mul_f32_e64 v47, v47, s6                                 // 0000000072B4: D105002F 00000D2F
	v_exp_f32_e32 v44, v44                                     // 0000000072BC: 7E58412C
	v_exp_f32_e32 v45, v45                                     // 0000000072C0: 7E5A412D
	v_exp_f32_e32 v46, v46                                     // 0000000072C4: 7E5C412E
	v_exp_f32_e32 v47, v47                                     // 0000000072C8: 7E5E412F
	buffer_load_dwordx4 a[28:31], v38, s[12:15], 0 offen       // 0000000072CC: E05C1000 80831C26
	s_add_u32 s12, s78, s12                                    // 0000000072D4: 800C0C4E
	s_addc_u32 s13, 0, s13                                     // 0000000072D8: 820D0D80
	v_add_f32_e64 v44, v44, 1.0                                // 0000000072DC: D101002C 0001E52C
	v_add_f32_e64 v45, v45, 1.0                                // 0000000072E4: D101002D 0001E52D
	v_add_f32_e64 v46, v46, 1.0                                // 0000000072EC: D101002E 0001E52E
	v_add_f32_e64 v47, v47, 1.0                                // 0000000072F4: D101002F 0001E52F
	v_rcp_f32_e32 v44, v44                                     // 0000000072FC: 7E58452C
	v_rcp_f32_e32 v45, v45                                     // 000000007300: 7E5A452D
	v_rcp_f32_e32 v46, v46                                     // 000000007304: 7E5C452E
	v_rcp_f32_e32 v47, v47                                     // 000000007308: 7E5E452F
	v_mul_f32_e32 v140, v140, v44                              // 00000000730C: 0B18598C
	v_mul_f32_e32 v141, v141, v45                              // 000000007310: 0B1A5B8D
	v_mul_f32_e32 v142, v142, v46                              // 000000007314: 0B1C5D8E
	v_mul_f32_e32 v143, v143, v47                              // 000000007318: 0B1E5F8F
	v_mul_f32_e32 v140, v140, v76                              // 00000000731C: 0B18998C
	v_mul_f32_e32 v141, v141, v77                              // 000000007320: 0B1A9B8D
	v_mul_f32_e32 v142, v142, v78                              // 000000007324: 0B1C9D8E
	v_mul_f32_e32 v143, v143, v79                              // 000000007328: 0B1E9F8F
	s_waitcnt vmcnt(8)                                         // 00000000732C: BF8C0F78
	buffer_load_dwordx4 a[32:35], v35, s[12:15], 0 offen       // 000000007330: E05C1000 80832023
	v_mul_f32_e32 v44, v144, v144                              // 000000007338: 0A592190
	v_mul_f32_e32 v45, v145, v145                              // 00000000733C: 0A5B2391
	v_mul_f32_e32 v46, v146, v146                              // 000000007340: 0A5D2592
	v_mul_f32_e32 v47, v147, v147                              // 000000007344: 0A5F2793
	v_fma_f32 v44, v44, s77, v1                                // 000000007348: D1CB002C 04049B2C
	v_fma_f32 v45, v45, s77, v1                                // 000000007350: D1CB002D 04049B2D
	v_fma_f32 v46, v46, s77, v1                                // 000000007358: D1CB002E 04049B2E
	v_fma_f32 v47, v47, s77, v1                                // 000000007360: D1CB002F 04049B2F
	v_mul_f32_e32 v44, v44, v144                               // 000000007368: 0A59212C
	v_mul_f32_e32 v45, v45, v145                               // 00000000736C: 0A5B232D
	v_mul_f32_e32 v46, v46, v146                               // 000000007370: 0A5D252E
	v_mul_f32_e32 v47, v47, v147                               // 000000007374: 0A5F272F
	v_mul_f32_e64 v44, v44, s6                                 // 000000007378: D105002C 00000D2C
	v_mul_f32_e64 v45, v45, s6                                 // 000000007380: D105002D 00000D2D
	v_mul_f32_e64 v46, v46, s6                                 // 000000007388: D105002E 00000D2E
	v_mul_f32_e64 v47, v47, s6                                 // 000000007390: D105002F 00000D2F
	v_exp_f32_e32 v44, v44                                     // 000000007398: 7E58412C
	v_exp_f32_e32 v45, v45                                     // 00000000739C: 7E5A412D
	v_exp_f32_e32 v46, v46                                     // 0000000073A0: 7E5C412E
	v_exp_f32_e32 v47, v47                                     // 0000000073A4: 7E5E412F
	buffer_load_dwordx4 a[36:39], v36, s[12:15], 0 offen       // 0000000073A8: E05C1000 80832424
	v_add_f32_e64 v44, v44, 1.0                                // 0000000073B0: D101002C 0001E52C
	v_add_f32_e64 v45, v45, 1.0                                // 0000000073B8: D101002D 0001E52D
	v_add_f32_e64 v46, v46, 1.0                                // 0000000073C0: D101002E 0001E52E
	v_add_f32_e64 v47, v47, 1.0                                // 0000000073C8: D101002F 0001E52F
	v_rcp_f32_e32 v44, v44                                     // 0000000073D0: 7E58452C
	v_rcp_f32_e32 v45, v45                                     // 0000000073D4: 7E5A452D
	v_rcp_f32_e32 v46, v46                                     // 0000000073D8: 7E5C452E
	v_rcp_f32_e32 v47, v47                                     // 0000000073DC: 7E5E452F
	v_mul_f32_e32 v144, v144, v44                              // 0000000073E0: 0B205990
	v_mul_f32_e32 v145, v145, v45                              // 0000000073E4: 0B225B91
	v_mul_f32_e32 v146, v146, v46                              // 0000000073E8: 0B245D92
	v_mul_f32_e32 v147, v147, v47                              // 0000000073EC: 0B265F93
	v_mul_f32_e32 v144, v144, v80                              // 0000000073F0: 0B20A190
	v_mul_f32_e32 v145, v145, v81                              // 0000000073F4: 0B22A391
	v_mul_f32_e32 v146, v146, v82                              // 0000000073F8: 0B24A592
	v_mul_f32_e32 v147, v147, v83                              // 0000000073FC: 0B26A793
	buffer_load_dwordx4 a[40:43], v37, s[12:15], 0 offen       // 000000007400: E05C1000 80832825
	v_mul_f32_e32 v44, v148, v148                              // 000000007408: 0A592994
	v_mul_f32_e32 v45, v149, v149                              // 00000000740C: 0A5B2B95
	v_mul_f32_e32 v46, v150, v150                              // 000000007410: 0A5D2D96
	v_mul_f32_e32 v47, v151, v151                              // 000000007414: 0A5F2F97
	v_fma_f32 v44, v44, s77, v1                                // 000000007418: D1CB002C 04049B2C
	v_fma_f32 v45, v45, s77, v1                                // 000000007420: D1CB002D 04049B2D
	v_fma_f32 v46, v46, s77, v1                                // 000000007428: D1CB002E 04049B2E
	v_fma_f32 v47, v47, s77, v1                                // 000000007430: D1CB002F 04049B2F
	v_mul_f32_e32 v44, v44, v148                               // 000000007438: 0A59292C
	v_mul_f32_e32 v45, v45, v149                               // 00000000743C: 0A5B2B2D
	v_mul_f32_e32 v46, v46, v150                               // 000000007440: 0A5D2D2E
	v_mul_f32_e32 v47, v47, v151                               // 000000007444: 0A5F2F2F
	v_mul_f32_e64 v44, v44, s6                                 // 000000007448: D105002C 00000D2C
	v_mul_f32_e64 v45, v45, s6                                 // 000000007450: D105002D 00000D2D
	v_mul_f32_e64 v46, v46, s6                                 // 000000007458: D105002E 00000D2E
	v_mul_f32_e64 v47, v47, s6                                 // 000000007460: D105002F 00000D2F
	v_exp_f32_e32 v44, v44                                     // 000000007468: 7E58412C
	v_exp_f32_e32 v45, v45                                     // 00000000746C: 7E5A412D
	v_exp_f32_e32 v46, v46                                     // 000000007470: 7E5C412E
	v_exp_f32_e32 v47, v47                                     // 000000007474: 7E5E412F
	buffer_load_dwordx4 a[44:47], v38, s[12:15], 0 offen       // 000000007478: E05C1000 80832C26
	v_add_f32_e64 v44, v44, 1.0                                // 000000007480: D101002C 0001E52C
	v_add_f32_e64 v45, v45, 1.0                                // 000000007488: D101002D 0001E52D
	v_add_f32_e64 v46, v46, 1.0                                // 000000007490: D101002E 0001E52E
	v_add_f32_e64 v47, v47, 1.0                                // 000000007498: D101002F 0001E52F
	v_rcp_f32_e32 v44, v44                                     // 0000000074A0: 7E58452C
	v_rcp_f32_e32 v45, v45                                     // 0000000074A4: 7E5A452D
	v_rcp_f32_e32 v46, v46                                     // 0000000074A8: 7E5C452E
	v_rcp_f32_e32 v47, v47                                     // 0000000074AC: 7E5E452F
	v_mul_f32_e32 v148, v148, v44                              // 0000000074B0: 0B285994
	v_mul_f32_e32 v149, v149, v45                              // 0000000074B4: 0B2A5B95
	v_mul_f32_e32 v150, v150, v46                              // 0000000074B8: 0B2C5D96
	v_mul_f32_e32 v151, v151, v47                              // 0000000074BC: 0B2E5F97
	v_mul_f32_e32 v148, v148, v84                              // 0000000074C0: 0B28A994
	v_mul_f32_e32 v149, v149, v85                              // 0000000074C4: 0B2AAB95
	v_mul_f32_e32 v150, v150, v86                              // 0000000074C8: 0B2CAD96
	v_mul_f32_e32 v151, v151, v87                              // 0000000074CC: 0B2EAF97
	v_mul_f32_dpp v128, v16, v128 row_newbcast:0 row_mask:0xf bank_mask:0xf// 0000000074D0: 0B0100FA FF015010
	v_mul_f32_dpp v129, v16, v129 row_newbcast:1 row_mask:0xf bank_mask:0xf// 0000000074D8: 0B0302FA FF015110
	v_mul_f32_dpp v130, v16, v130 row_newbcast:2 row_mask:0xf bank_mask:0xf// 0000000074E0: 0B0504FA FF015210
	v_mul_f32_dpp v131, v16, v131 row_newbcast:3 row_mask:0xf bank_mask:0xf// 0000000074E8: 0B0706FA FF015310
	v_mul_f32_dpp v132, v16, v132 row_newbcast:0 row_mask:0xf bank_mask:0xf// 0000000074F0: 0B0908FA FF015010
	v_mul_f32_dpp v133, v16, v133 row_newbcast:1 row_mask:0xf bank_mask:0xf// 0000000074F8: 0B0B0AFA FF015110
	v_mul_f32_dpp v134, v16, v134 row_newbcast:2 row_mask:0xf bank_mask:0xf// 000000007500: 0B0D0CFA FF015210
	v_mul_f32_dpp v135, v16, v135 row_newbcast:3 row_mask:0xf bank_mask:0xf// 000000007508: 0B0F0EFA FF015310
	v_mul_f32_dpp v136, v16, v136 row_newbcast:4 row_mask:0xf bank_mask:0xf// 000000007510: 0B1110FA FF015410
	v_mul_f32_dpp v137, v16, v137 row_newbcast:5 row_mask:0xf bank_mask:0xf// 000000007518: 0B1312FA FF015510
	v_mul_f32_dpp v138, v16, v138 row_newbcast:6 row_mask:0xf bank_mask:0xf// 000000007520: 0B1514FA FF015610
	v_mul_f32_dpp v139, v16, v139 row_newbcast:7 row_mask:0xf bank_mask:0xf// 000000007528: 0B1716FA FF015710
	v_mul_f32_dpp v140, v16, v140 row_newbcast:4 row_mask:0xf bank_mask:0xf// 000000007530: 0B1918FA FF015410
	v_mul_f32_dpp v141, v16, v141 row_newbcast:5 row_mask:0xf bank_mask:0xf// 000000007538: 0B1B1AFA FF015510
	v_mul_f32_dpp v142, v16, v142 row_newbcast:6 row_mask:0xf bank_mask:0xf// 000000007540: 0B1D1CFA FF015610
	v_mul_f32_dpp v143, v16, v143 row_newbcast:7 row_mask:0xf bank_mask:0xf// 000000007548: 0B1F1EFA FF015710
	v_mul_f32_dpp v144, v16, v144 row_newbcast:8 row_mask:0xf bank_mask:0xf// 000000007550: 0B2120FA FF015810
	v_mul_f32_dpp v145, v16, v145 row_newbcast:9 row_mask:0xf bank_mask:0xf// 000000007558: 0B2322FA FF015910
	v_mul_f32_dpp v146, v16, v146 row_newbcast:10 row_mask:0xf bank_mask:0xf// 000000007560: 0B2524FA FF015A10
	v_mul_f32_dpp v147, v16, v147 row_newbcast:11 row_mask:0xf bank_mask:0xf// 000000007568: 0B2726FA FF015B10
	v_mul_f32_dpp v148, v16, v148 row_newbcast:8 row_mask:0xf bank_mask:0xf// 000000007570: 0B2928FA FF015810
	v_mul_f32_dpp v149, v16, v149 row_newbcast:9 row_mask:0xf bank_mask:0xf// 000000007578: 0B2B2AFA FF015910
	v_mul_f32_dpp v150, v16, v150 row_newbcast:10 row_mask:0xf bank_mask:0xf// 000000007580: 0B2D2CFA FF015A10
	v_mul_f32_dpp v151, v16, v151 row_newbcast:11 row_mask:0xf bank_mask:0xf// 000000007588: 0B2F2EFA FF015B10
	v_lshlrev_b32_e32 v44, 2, v0                               // 000000007590: 24580082
	s_mul_i32 s60, s82, s71                                    // 000000007594: 923C4752
	v_add_u32_e64 v80, v44, s60                                // 000000007598: D1340050 0000792C
	v_mov_b32_e32 v81, 0                                       // 0000000075A0: 7EA20280
	s_mul_i32 s60, s83, s71                                    // 0000000075A4: 923C4753
	v_add_u32_e64 v82, v44, s60                                // 0000000075A8: D1340052 0000792C
	v_mov_b32_e32 v83, 0                                       // 0000000075B0: 7EA60280
	s_mul_i32 s60, s84, s71                                    // 0000000075B4: 923C4754
	v_add_u32_e64 v84, v44, s60                                // 0000000075B8: D1340054 0000792C
	v_mov_b32_e32 v85, 0                                       // 0000000075C0: 7EAA0280
	s_mul_i32 s60, s85, s71                                    // 0000000075C4: 923C4755
	v_add_u32_e64 v86, v44, s60                                // 0000000075C8: D1340056 0000792C
	v_mov_b32_e32 v87, 0                                       // 0000000075D0: 7EAE0280
	s_mul_i32 s60, s86, s71                                    // 0000000075D4: 923C4756
	v_add_u32_e64 v88, v44, s60                                // 0000000075D8: D1340058 0000792C
	v_mov_b32_e32 v89, 0                                       // 0000000075E0: 7EB20280
	s_mul_i32 s60, s87, s71                                    // 0000000075E4: 923C4757
	v_add_u32_e64 v90, v44, s60                                // 0000000075E8: D134005A 0000792C
	v_mov_b32_e32 v91, 0                                       // 0000000075F0: 7EB60280
	s_mul_i32 s60, s88, s71                                    // 0000000075F4: 923C4758
	v_add_u32_e64 v92, v44, s60                                // 0000000075F8: D134005C 0000792C
	v_mov_b32_e32 v93, 0                                       // 000000007600: 7EBA0280
	s_mul_i32 s60, s89, s71                                    // 000000007604: 923C4759
	v_add_u32_e64 v94, v44, s60                                // 000000007608: D134005E 0000792C
	v_mov_b32_e32 v95, 0                                       // 000000007610: 7EBE0280
	buffer_load_dword v11, v5, s[16:19], 0 offen               // 000000007614: E0501000 80040B05
	v_mov_b32_e32 v20, 0x358637bd                              // 00000000761C: 7E2802FF 358637BD
	v_mov_b32_e32 v21, 0x358637bd                              // 000000007624: 7E2A02FF 358637BD
	v_max3_f32 v20, |v128|, |v129|, v20                        // 00000000762C: D1D30314 04530380
	v_max3_f32 v20, |v130|, |v131|, v20                        // 000000007634: D1D30314 04530782
	v_max3_f32 v21, |v132|, |v133|, v21                        // 00000000763C: D1D30315 04570B84
	v_max3_f32 v21, |v134|, |v135|, v21                        // 000000007644: D1D30315 04570F86
	v_max3_f32 v20, |v136|, |v137|, v20                        // 00000000764C: D1D30314 04531388
	v_max3_f32 v20, |v138|, |v139|, v20                        // 000000007654: D1D30314 0453178A
	v_max3_f32 v21, |v140|, |v141|, v21                        // 00000000765C: D1D30315 04571B8C
	v_max3_f32 v21, |v142|, |v143|, v21                        // 000000007664: D1D30315 04571F8E
	v_max3_f32 v20, |v144|, |v145|, v20                        // 00000000766C: D1D30314 04532390
	v_max3_f32 v20, |v146|, |v147|, v20                        // 000000007674: D1D30314 04532792
	v_max3_f32 v21, |v148|, |v149|, v21                        // 00000000767C: D1D30315 04572B94
	v_max3_f32 v21, |v150|, |v151|, v21                        // 000000007684: D1D30315 04572F96
	v_lshlrev_b32_e32 v44, 3, v0                               // 00000000768C: 24580083
	s_mul_i32 s60, 0x200, s7                                   // 000000007690: 923C07FF 00000200
	v_add_u32_e32 v44, s60, v44                                // 000000007698: 6858583C
	ds_write_b64 v44, v[20:21] offset:16640                    // 00000000769C: D89A4100 0000142C
	s_waitcnt lgkmcnt(0)                                       // 0000000076A4: BF8CC07F
	s_barrier                                                  // 0000000076A8: BF8A0000
	v_and_b32_e32 v44, 15, v0                                  // 0000000076AC: 2658008F
	v_lshlrev_b32_e32 v44, 3, v44                              // 0000000076B0: 24585883
	ds_read_b64 v[96:97], v44 offset:16640                     // 0000000076B4: D8EC4100 6000002C
	ds_read_b64 v[98:99], v44 offset:16768                     // 0000000076BC: D8EC4180 6200002C
	ds_read_b64 v[100:101], v44 offset:16896                   // 0000000076C4: D8EC4200 6400002C
	ds_read_b64 v[102:103], v44 offset:17024                   // 0000000076CC: D8EC4280 6600002C
	ds_read_b64 v[104:105], v44 offset:17152                   // 0000000076D4: D8EC4300 6800002C
	ds_read_b64 v[106:107], v44 offset:17280                   // 0000000076DC: D8EC4380 6A00002C
	ds_read_b64 v[108:109], v44 offset:17408                   // 0000000076E4: D8EC4400 6C00002C
	ds_read_b64 v[110:111], v44 offset:17536                   // 0000000076EC: D8EC4480 6E00002C
	ds_read_b64 v[112:113], v44 offset:17664                   // 0000000076F4: D8EC4500 7000002C
	ds_read_b64 v[114:115], v44 offset:17792                   // 0000000076FC: D8EC4580 7200002C
	ds_read_b64 v[116:117], v44 offset:17920                   // 000000007704: D8EC4600 7400002C
	ds_read_b64 v[118:119], v44 offset:18048                   // 00000000770C: D8EC4680 7600002C
	ds_read_b64 v[120:121], v44 offset:18176                   // 000000007714: D8EC4700 7800002C
	ds_read_b64 v[122:123], v44 offset:18304                   // 00000000771C: D8EC4780 7A00002C
	ds_read_b64 v[124:125], v44 offset:18432                   // 000000007724: D8EC4800 7C00002C
	ds_read_b64 v[126:127], v44 offset:18560                   // 00000000772C: D8EC4880 7E00002C
	s_waitcnt lgkmcnt(0)                                       // 000000007734: BF8CC07F
	v_max3_f32 v20, |v96|, |v98|, v20                          // 000000007738: D1D30314 0452C560
	v_max3_f32 v21, |v97|, |v99|, v21                          // 000000007740: D1D30315 0456C761
	v_max3_f32 v20, |v100|, |v102|, v20                        // 000000007748: D1D30314 0452CD64
	v_max3_f32 v21, |v101|, |v103|, v21                        // 000000007750: D1D30315 0456CF65
	v_max3_f32 v20, |v104|, |v106|, v20                        // 000000007758: D1D30314 0452D568
	v_max3_f32 v21, |v105|, |v107|, v21                        // 000000007760: D1D30315 0456D769
	v_max3_f32 v20, |v108|, |v110|, v20                        // 000000007768: D1D30314 0452DD6C
	v_max3_f32 v21, |v109|, |v111|, v21                        // 000000007770: D1D30315 0456DF6D
	v_max3_f32 v20, |v112|, |v114|, v20                        // 000000007778: D1D30314 0452E570
	v_max3_f32 v21, |v113|, |v115|, v21                        // 000000007780: D1D30315 0456E771
	v_max3_f32 v20, |v116|, |v118|, v20                        // 000000007788: D1D30314 0452ED74
	v_max3_f32 v21, |v117|, |v119|, v21                        // 000000007790: D1D30315 0456EF75
	v_max3_f32 v20, |v120|, |v122|, v20                        // 000000007798: D1D30314 0452F578
	v_max3_f32 v21, |v121|, |v123|, v21                        // 0000000077A0: D1D30315 0456F779
	v_max3_f32 v20, |v124|, |v126|, v20                        // 0000000077A8: D1D30314 0452FD7C
	v_max3_f32 v21, |v125|, |v127|, v21                        // 0000000077B0: D1D30315 0456FF7D
	v_rcp_f32_e32 v20, v20                                     // 0000000077B8: 7E284514
	v_rcp_f32_e32 v21, v21                                     // 0000000077BC: 7E2A4515
	v_mul_f32_e32 v20, 0x42fe0000, v20                         // 0000000077C0: 0A2828FF 42FE0000
	v_mul_f32_e32 v21, 0x42fe0000, v21                         // 0000000077C8: 0A2A2AFF 42FE0000
	v_mul_f32_e32 v128, v20, v128                              // 0000000077D0: 0B010114
	v_mul_f32_e32 v129, v20, v129                              // 0000000077D4: 0B030314
	v_mul_f32_e32 v130, v20, v130                              // 0000000077D8: 0B050514
	v_mul_f32_e32 v131, v20, v131                              // 0000000077DC: 0B070714
	v_cvt_i32_f32_e32 v128, v128                               // 0000000077E0: 7F001180
	v_cvt_i32_f32_e32 v129, v129                               // 0000000077E4: 7F021181
	v_cvt_i32_f32_e32 v130, v130                               // 0000000077E8: 7F041182
	v_cvt_i32_f32_e32 v131, v131                               // 0000000077EC: 7F061183
	v_perm_b32 v128, v129, v128, s53                           // 0000000077F0: D1ED0080 00D70181
	v_perm_b32 v128, v130, v128, s54                           // 0000000077F8: D1ED0080 00DB0182
	v_perm_b32 v128, v131, v128, s55                           // 000000007800: D1ED0080 00DF0183
	v_mul_f32_e32 v132, v21, v132                              // 000000007808: 0B090915
	v_mul_f32_e32 v133, v21, v133                              // 00000000780C: 0B0B0B15
	v_mul_f32_e32 v134, v21, v134                              // 000000007810: 0B0D0D15
	v_mul_f32_e32 v135, v21, v135                              // 000000007814: 0B0F0F15
	v_cvt_i32_f32_e32 v132, v132                               // 000000007818: 7F081184
	v_cvt_i32_f32_e32 v133, v133                               // 00000000781C: 7F0A1185
	v_cvt_i32_f32_e32 v134, v134                               // 000000007820: 7F0C1186
	v_cvt_i32_f32_e32 v135, v135                               // 000000007824: 7F0E1187
	v_perm_b32 v129, v133, v132, s53                           // 000000007828: D1ED0081 00D70985
	v_perm_b32 v129, v134, v129, s54                           // 000000007830: D1ED0081 00DB0386
	v_perm_b32 v129, v135, v129, s55                           // 000000007838: D1ED0081 00DF0387
	v_mul_f32_e32 v136, v20, v136                              // 000000007840: 0B111114
	v_mul_f32_e32 v137, v20, v137                              // 000000007844: 0B131314
	v_mul_f32_e32 v138, v20, v138                              // 000000007848: 0B151514
	v_mul_f32_e32 v139, v20, v139                              // 00000000784C: 0B171714
	v_cvt_i32_f32_e32 v136, v136                               // 000000007850: 7F101188
	v_cvt_i32_f32_e32 v137, v137                               // 000000007854: 7F121189
	v_cvt_i32_f32_e32 v138, v138                               // 000000007858: 7F14118A
	v_cvt_i32_f32_e32 v139, v139                               // 00000000785C: 7F16118B
	v_perm_b32 v130, v137, v136, s53                           // 000000007860: D1ED0082 00D71189
	v_perm_b32 v130, v138, v130, s54                           // 000000007868: D1ED0082 00DB058A
	v_perm_b32 v130, v139, v130, s55                           // 000000007870: D1ED0082 00DF058B
	v_mul_f32_e32 v140, v21, v140                              // 000000007878: 0B191915
	v_mul_f32_e32 v141, v21, v141                              // 00000000787C: 0B1B1B15
	v_mul_f32_e32 v142, v21, v142                              // 000000007880: 0B1D1D15
	v_mul_f32_e32 v143, v21, v143                              // 000000007884: 0B1F1F15
	v_cvt_i32_f32_e32 v140, v140                               // 000000007888: 7F18118C
	v_cvt_i32_f32_e32 v141, v141                               // 00000000788C: 7F1A118D
	v_cvt_i32_f32_e32 v142, v142                               // 000000007890: 7F1C118E
	v_cvt_i32_f32_e32 v143, v143                               // 000000007894: 7F1E118F
	v_perm_b32 v131, v141, v140, s53                           // 000000007898: D1ED0083 00D7198D
	v_perm_b32 v131, v142, v131, s54                           // 0000000078A0: D1ED0083 00DB078E
	v_perm_b32 v131, v143, v131, s55                           // 0000000078A8: D1ED0083 00DF078F
	v_mul_f32_e32 v144, v20, v144                              // 0000000078B0: 0B212114
	v_mul_f32_e32 v145, v20, v145                              // 0000000078B4: 0B232314
	v_mul_f32_e32 v146, v20, v146                              // 0000000078B8: 0B252514
	v_mul_f32_e32 v147, v20, v147                              // 0000000078BC: 0B272714
	v_cvt_i32_f32_e32 v144, v144                               // 0000000078C0: 7F201190
	v_cvt_i32_f32_e32 v145, v145                               // 0000000078C4: 7F221191
	v_cvt_i32_f32_e32 v146, v146                               // 0000000078C8: 7F241192
	v_cvt_i32_f32_e32 v147, v147                               // 0000000078CC: 7F261193
	v_perm_b32 v132, v145, v144, s53                           // 0000000078D0: D1ED0084 00D72191
	v_perm_b32 v132, v146, v132, s54                           // 0000000078D8: D1ED0084 00DB0992
	v_perm_b32 v132, v147, v132, s55                           // 0000000078E0: D1ED0084 00DF0993
	v_mul_f32_e32 v148, v21, v148                              // 0000000078E8: 0B292915
	v_mul_f32_e32 v149, v21, v149                              // 0000000078EC: 0B2B2B15
	v_mul_f32_e32 v150, v21, v150                              // 0000000078F0: 0B2D2D15
	v_mul_f32_e32 v151, v21, v151                              // 0000000078F4: 0B2F2F15
	v_cvt_i32_f32_e32 v148, v148                               // 0000000078F8: 7F281194
	v_cvt_i32_f32_e32 v149, v149                               // 0000000078FC: 7F2A1195
	v_cvt_i32_f32_e32 v150, v150                               // 000000007900: 7F2C1196
	v_cvt_i32_f32_e32 v151, v151                               // 000000007904: 7F2E1197
	v_perm_b32 v133, v149, v148, s53                           // 000000007908: D1ED0085 00D72995
	v_perm_b32 v133, v150, v133, s54                           // 000000007910: D1ED0085 00DB0B96
	v_perm_b32 v133, v151, v133, s55                           // 000000007918: D1ED0085 00DF0B97
	v_rcp_f32_e32 v22, v20                                     // 000000007920: 7E2C4514
	v_rcp_f32_e32 v23, v21                                     // 000000007924: 7E2E4515
	v_lshrrev_b32_e32 v44, 5, v0                               // 000000007928: 20580085
	v_lshlrev_b32_e32 v45, 5, v44                              // 00000000792C: 245A5885
	v_and_b32_e32 v44, 31, v0                                  // 000000007930: 2658009F
	v_lshrrev_b32_e32 v46, 4, v44                              // 000000007934: 205C5884
	v_add_u32_e32 v45, v46, v45                                // 000000007938: 685A5B2E
	v_and_b32_e32 v44, 15, v0                                  // 00000000793C: 2658008F
	v_lshlrev_b32_e32 v44, 1, v44                              // 000000007940: 24585881
	v_add_u32_e32 v45, v44, v45                                // 000000007944: 685A5B2C
	v_lshlrev_b32_e32 v44, 2, v45                              // 000000007948: 24585A82
	s_mul_i32 s60, 0x100, s7                                   // 00000000794C: 923C07FF 00000100
	v_add_u32_e64 v44, v44, s60                                // 000000007954: D134002C 0000792C
	ds_write_b32 v44, v128 offset:18688                        // 00000000795C: D81A4900 0000802C
	ds_write_b32 v44, v129 offset:21760                        // 000000007964: D81A5500 0000812C
	ds_write_b32 v44, v130 offset:19712                        // 00000000796C: D81A4D00 0000822C
	ds_write_b32 v44, v131 offset:22784                        // 000000007974: D81A5900 0000832C
	ds_write_b32 v44, v132 offset:20736                        // 00000000797C: D81A5100 0000842C
	ds_write_b32 v44, v133 offset:23808                        // 000000007984: D81A5D00 0000852C
	s_waitcnt lgkmcnt(0)                                       // 00000000798C: BF8CC07F
	s_barrier                                                  // 000000007990: BF8A0000
	v_lshrrev_b32_e32 v44, 4, v0                               // 000000007994: 20580084
	v_lshlrev_b32_e32 v45, 6, v44                              // 000000007998: 245A5886
	v_and_b32_e32 v44, 15, v0                                  // 00000000799C: 2658008F
	v_lshlrev_b32_e32 v44, 1, v44                              // 0000000079A0: 24585881
	v_add_u32_e32 v45, v44, v45                                // 0000000079A4: 685A5B2C
	v_lshlrev_b32_e32 v44, 2, v45                              // 0000000079A8: 24585A82
	ds_read_b64 v[128:129], v44 offset:18688                   // 0000000079AC: D8EC4900 8000002C
	ds_read_b64 v[130:131], v44 offset:18816                   // 0000000079B4: D8EC4980 8200002C
	ds_read_b64 v[132:133], v44 offset:19712                   // 0000000079BC: D8EC4D00 8400002C
	ds_read_b64 v[134:135], v44 offset:19840                   // 0000000079C4: D8EC4D80 8600002C
	ds_read_b64 v[136:137], v44 offset:20736                   // 0000000079CC: D8EC5100 8800002C
	ds_read_b64 v[138:139], v44 offset:20864                   // 0000000079D4: D8EC5180 8A00002C
	ds_read_b64 v[140:141], v44 offset:21760                   // 0000000079DC: D8EC5500 8C00002C
	ds_read_b64 v[142:143], v44 offset:21888                   // 0000000079E4: D8EC5580 8E00002C
	ds_read_b64 v[144:145], v44 offset:22784                   // 0000000079EC: D8EC5900 9000002C
	ds_read_b64 v[146:147], v44 offset:22912                   // 0000000079F4: D8EC5980 9200002C
	ds_read_b64 v[148:149], v44 offset:23808                   // 0000000079FC: D8EC5D00 9400002C
	ds_read_b64 v[150:151], v44 offset:23936                   // 000000007A04: D8EC5D80 9600002C
	s_add_u32 s12, s56, s12                                    // 000000007A0C: 800C0C38
	s_addc_u32 s13, 0, s13                                     // 000000007A10: 820D0D80
	s_add_u32 s16, s79, s16                                    // 000000007A14: 8010104F
	s_addc_u32 s17, 0, s17                                     // 000000007A18: 82111180
	s_mov_b32 s80, 0                                           // 000000007A1C: BED00080
	s_waitcnt vmcnt(0) expcnt(0) lgkmcnt(0)                    // 000000007A20: BF8C0000

0000000000007a24 <label_1309>:
	s_waitcnt vmcnt(25)                                        // 000000007A24: BF8C4F79
	s_barrier                                                  // 000000007A28: BF8A0000
	v_mfma_i32_16x16x32_i8 v[152:155], a[0:1], v[128:129], 0   // 000000007A2C: D3D70098 0A030100
	buffer_load_dwordx4 a[48:51], v35, s[12:15], 0 offen       // 000000007A34: E05C1000 80833023
	v_mfma_i32_16x16x32_i8 v[152:155], a[2:3], v[130:131], v[152:155]// 000000007A3C: D3D70098 0E630502
	v_mfma_i32_16x16x32_i8 v[156:159], a[0:1], v[140:141], 0   // 000000007A44: D3D7009C 0A031900
	v_mfma_i32_16x16x32_i8 v[156:159], a[2:3], v[142:143], v[156:159]// 000000007A4C: D3D7009C 0E731D02
	v_mfma_i32_16x16x32_i8 v[160:163], a[4:5], v[128:129], 0   // 000000007A54: D3D700A0 0A030104
	buffer_load_dwordx4 a[52:55], v36, s[12:15], 0 offen       // 000000007A5C: E05C1000 80833424
	v_mfma_i32_16x16x32_i8 v[160:163], a[6:7], v[130:131], v[160:163]// 000000007A64: D3D700A0 0E830506
	v_mfma_i32_16x16x32_i8 v[164:167], a[4:5], v[140:141], 0   // 000000007A6C: D3D700A4 0A031904
	v_mfma_i32_16x16x32_i8 v[164:167], a[6:7], v[142:143], v[164:167]// 000000007A74: D3D700A4 0E931D06
	v_mfma_i32_16x16x32_i8 v[168:171], a[8:9], v[128:129], 0   // 000000007A7C: D3D700A8 0A030108
	buffer_load_dwordx4 a[56:59], v37, s[12:15], 0 offen       // 000000007A84: E05C1000 80833825
	v_mfma_i32_16x16x32_i8 v[168:171], a[10:11], v[130:131], v[168:171]// 000000007A8C: D3D700A8 0EA3050A
	v_mfma_i32_16x16x32_i8 v[172:175], a[8:9], v[140:141], 0   // 000000007A94: D3D700AC 0A031908
	v_mfma_i32_16x16x32_i8 v[172:175], a[10:11], v[142:143], v[172:175]// 000000007A9C: D3D700AC 0EB31D0A
	v_mfma_i32_16x16x32_i8 v[176:179], a[12:13], v[128:129], 0 // 000000007AA4: D3D700B0 0A03010C
	buffer_load_dwordx4 a[60:63], v38, s[12:15], 0 offen       // 000000007AAC: E05C1000 80833C26
	s_add_u32 s12, s78, s12                                    // 000000007AB4: 800C0C4E
	s_addc_u32 s13, 0, s13                                     // 000000007AB8: 820D0D80
	v_mfma_i32_16x16x32_i8 v[176:179], a[14:15], v[130:131], v[176:179]// 000000007ABC: D3D700B0 0EC3050E
	v_mfma_i32_16x16x32_i8 v[180:183], a[12:13], v[140:141], 0 // 000000007AC4: D3D700B4 0A03190C
	v_mfma_i32_16x16x32_i8 v[180:183], a[14:15], v[142:143], v[180:183]// 000000007ACC: D3D700B4 0ED31D0E
	s_waitcnt vmcnt(25)                                        // 000000007AD4: BF8C4F79
	v_mfma_i32_16x16x32_i8 v[152:155], a[16:17], v[132:133], v[152:155]// 000000007AD8: D3D70098 0E630910
	buffer_load_dwordx4 a[64:67], v35, s[12:15], 0 offen       // 000000007AE0: E05C1000 80834023
	v_mfma_i32_16x16x32_i8 v[152:155], a[18:19], v[134:135], v[152:155]// 000000007AE8: D3D70098 0E630D12
	v_mfma_i32_16x16x32_i8 v[156:159], a[16:17], v[144:145], v[156:159]// 000000007AF0: D3D7009C 0E732110
	v_mfma_i32_16x16x32_i8 v[156:159], a[18:19], v[146:147], v[156:159]// 000000007AF8: D3D7009C 0E732512
	v_mfma_i32_16x16x32_i8 v[160:163], a[20:21], v[132:133], v[160:163]// 000000007B00: D3D700A0 0E830914
	buffer_load_dwordx4 a[68:71], v36, s[12:15], 0 offen       // 000000007B08: E05C1000 80834424
	v_mfma_i32_16x16x32_i8 v[160:163], a[22:23], v[134:135], v[160:163]// 000000007B10: D3D700A0 0E830D16
	v_mfma_i32_16x16x32_i8 v[164:167], a[20:21], v[144:145], v[164:167]// 000000007B18: D3D700A4 0E932114
	v_mfma_i32_16x16x32_i8 v[164:167], a[22:23], v[146:147], v[164:167]// 000000007B20: D3D700A4 0E932516
	v_mfma_i32_16x16x32_i8 v[168:171], a[24:25], v[132:133], v[168:171]// 000000007B28: D3D700A8 0EA30918
	buffer_load_dwordx4 a[72:75], v37, s[12:15], 0 offen       // 000000007B30: E05C1000 80834825
	v_mfma_i32_16x16x32_i8 v[168:171], a[26:27], v[134:135], v[168:171]// 000000007B38: D3D700A8 0EA30D1A
	v_mfma_i32_16x16x32_i8 v[172:175], a[24:25], v[144:145], v[172:175]// 000000007B40: D3D700AC 0EB32118
	v_mfma_i32_16x16x32_i8 v[172:175], a[26:27], v[146:147], v[172:175]// 000000007B48: D3D700AC 0EB3251A
	v_mfma_i32_16x16x32_i8 v[176:179], a[28:29], v[132:133], v[176:179]// 000000007B50: D3D700B0 0EC3091C
	buffer_load_dwordx4 a[76:79], v38, s[12:15], 0 offen       // 000000007B58: E05C1000 80834C26
	s_add_u32 s12, s78, s12                                    // 000000007B60: 800C0C4E
	s_addc_u32 s13, 0, s13                                     // 000000007B64: 820D0D80
	v_mfma_i32_16x16x32_i8 v[176:179], a[30:31], v[134:135], v[176:179]// 000000007B68: D3D700B0 0EC30D1E
	v_mfma_i32_16x16x32_i8 v[180:183], a[28:29], v[144:145], v[180:183]// 000000007B70: D3D700B4 0ED3211C
	v_mfma_i32_16x16x32_i8 v[180:183], a[30:31], v[146:147], v[180:183]// 000000007B78: D3D700B4 0ED3251E
	s_waitcnt vmcnt(24)                                        // 000000007B80: BF8C4F78
	v_mfma_i32_16x16x32_i8 v[152:155], a[32:33], v[136:137], v[152:155]// 000000007B84: D3D70098 0E631120
	buffer_load_dwordx4 a[80:83], v35, s[12:15], 0 offen       // 000000007B8C: E05C1000 80835023
	v_mfma_i32_16x16x32_i8 v[152:155], a[34:35], v[138:139], v[152:155]// 000000007B94: D3D70098 0E631522
	v_mfma_i32_16x16x32_i8 v[156:159], a[32:33], v[148:149], v[156:159]// 000000007B9C: D3D7009C 0E732920
	buffer_load_dword v12, v5, s[16:19], 0 offen               // 000000007BA4: E0501000 80040C05
	v_mfma_i32_16x16x32_i8 v[156:159], a[34:35], v[150:151], v[156:159]// 000000007BAC: D3D7009C 0E732D22
	v_mfma_i32_16x16x32_i8 v[160:163], a[36:37], v[136:137], v[160:163]// 000000007BB4: D3D700A0 0E831124
	buffer_load_dwordx4 a[84:87], v36, s[12:15], 0 offen       // 000000007BBC: E05C1000 80835424
	v_mfma_i32_16x16x32_i8 v[160:163], a[38:39], v[138:139], v[160:163]// 000000007BC4: D3D700A0 0E831526
	v_mfma_i32_16x16x32_i8 v[164:167], a[36:37], v[148:149], v[164:167]// 000000007BCC: D3D700A4 0E932924
	v_mfma_i32_16x16x32_i8 v[164:167], a[38:39], v[150:151], v[164:167]// 000000007BD4: D3D700A4 0E932D26
	v_mfma_i32_16x16x32_i8 v[168:171], a[40:41], v[136:137], v[168:171]// 000000007BDC: D3D700A8 0EA31128
	buffer_load_dwordx4 a[88:91], v37, s[12:15], 0 offen       // 000000007BE4: E05C1000 80835825
	v_mfma_i32_16x16x32_i8 v[168:171], a[42:43], v[138:139], v[168:171]// 000000007BEC: D3D700A8 0EA3152A
	v_mfma_i32_16x16x32_i8 v[172:175], a[40:41], v[148:149], v[172:175]// 000000007BF4: D3D700AC 0EB32928
	v_mfma_i32_16x16x32_i8 v[172:175], a[42:43], v[150:151], v[172:175]// 000000007BFC: D3D700AC 0EB32D2A
	v_mfma_i32_16x16x32_i8 v[176:179], a[44:45], v[136:137], v[176:179]// 000000007C04: D3D700B0 0EC3112C
	buffer_load_dwordx4 a[92:95], v38, s[12:15], 0 offen       // 000000007C0C: E05C1000 80835C26
	v_mfma_i32_16x16x32_i8 v[176:179], a[46:47], v[138:139], v[176:179]// 000000007C14: D3D700B0 0EC3152E
	v_mfma_i32_16x16x32_i8 v[180:183], a[44:45], v[148:149], v[180:183]// 000000007C1C: D3D700B4 0ED3292C
	v_mfma_i32_16x16x32_i8 v[180:183], a[46:47], v[150:151], v[180:183]// 000000007C24: D3D700B4 0ED32D2E
	s_add_u32 s60, 0x200, s80                                  // 000000007C2C: 803C50FF 00000200
	s_cmp_lt_u32 s60, s81                                      // 000000007C34: BF0A513C
	s_cselect_b32 s56, s56, 0                                  // 000000007C38: 85388038
	s_cselect_b32 s78, s78, 0                                  // 000000007C3C: 854E804E
	s_cselect_b32 s79, s79, 0                                  // 000000007C40: 854F804F
	s_add_u32 s12, s56, s12                                    // 000000007C44: 800C0C38
	s_addc_u32 s13, 0, s13                                     // 000000007C48: 820D0D80
	s_add_u32 s16, s79, s16                                    // 000000007C4C: 8010104F
	s_addc_u32 s17, 0, s17                                     // 000000007C50: 82111180
	v_cvt_f32_i32_e32 v152, v152                               // 000000007C54: 7F300B98
	v_cvt_f32_i32_e32 v153, v153                               // 000000007C58: 7F320B99
	v_cvt_f32_i32_e32 v154, v154                               // 000000007C5C: 7F340B9A
	v_cvt_f32_i32_e32 v155, v155                               // 000000007C60: 7F360B9B
	v_mul_f32_e32 v152, v22, v152                              // 000000007C64: 0B313116
	v_mul_f32_e32 v153, v22, v153                              // 000000007C68: 0B333316
	v_mul_f32_e32 v154, v22, v154                              // 000000007C6C: 0B353516
	v_mul_f32_e32 v155, v22, v155                              // 000000007C70: 0B373716
	v_mul_f32_dpp v152, v11, v152 row_newbcast:0 row_mask:0xf bank_mask:0xf// 000000007C74: 0B3130FA FF01500B
	v_mul_f32_dpp v153, v11, v153 row_newbcast:1 row_mask:0xf bank_mask:0xf// 000000007C7C: 0B3332FA FF01510B
	v_mul_f32_dpp v154, v11, v154 row_newbcast:2 row_mask:0xf bank_mask:0xf// 000000007C84: 0B3534FA FF01520B
	v_mul_f32_dpp v155, v11, v155 row_newbcast:3 row_mask:0xf bank_mask:0xf// 000000007C8C: 0B3736FA FF01530B
	v_mul_f32_e32 v152, v17, v152                              // 000000007C94: 0B313111
	v_mul_f32_e32 v153, v17, v153                              // 000000007C98: 0B333311
	v_mul_f32_e32 v154, v17, v154                              // 000000007C9C: 0B353511
	v_mul_f32_e32 v155, v17, v155                              // 000000007CA0: 0B373711
	v_cvt_f32_i32_e32 v156, v156                               // 000000007CA4: 7F380B9C
	v_cvt_f32_i32_e32 v157, v157                               // 000000007CA8: 7F3A0B9D
	v_cvt_f32_i32_e32 v158, v158                               // 000000007CAC: 7F3C0B9E
	v_cvt_f32_i32_e32 v159, v159                               // 000000007CB0: 7F3E0B9F
	v_mul_f32_e32 v156, v23, v156                              // 000000007CB4: 0B393917
	v_mul_f32_e32 v157, v23, v157                              // 000000007CB8: 0B3B3B17
	v_mul_f32_e32 v158, v23, v158                              // 000000007CBC: 0B3D3D17
	v_mul_f32_e32 v159, v23, v159                              // 000000007CC0: 0B3F3F17
	v_mul_f32_dpp v156, v11, v156 row_newbcast:0 row_mask:0xf bank_mask:0xf// 000000007CC4: 0B3938FA FF01500B
	v_mul_f32_dpp v157, v11, v157 row_newbcast:1 row_mask:0xf bank_mask:0xf// 000000007CCC: 0B3B3AFA FF01510B
	v_mul_f32_dpp v158, v11, v158 row_newbcast:2 row_mask:0xf bank_mask:0xf// 000000007CD4: 0B3D3CFA FF01520B
	v_mul_f32_dpp v159, v11, v159 row_newbcast:3 row_mask:0xf bank_mask:0xf// 000000007CDC: 0B3F3EFA FF01530B
	v_mul_f32_e32 v156, v18, v156                              // 000000007CE4: 0B393912
	v_mul_f32_e32 v157, v18, v157                              // 000000007CE8: 0B3B3B12
	v_mul_f32_e32 v158, v18, v158                              // 000000007CEC: 0B3D3D12
	v_mul_f32_e32 v159, v18, v159                              // 000000007CF0: 0B3F3F12
	v_cvt_f32_i32_e32 v160, v160                               // 000000007CF4: 7F400BA0
	v_cvt_f32_i32_e32 v161, v161                               // 000000007CF8: 7F420BA1
	v_cvt_f32_i32_e32 v162, v162                               // 000000007CFC: 7F440BA2
	v_cvt_f32_i32_e32 v163, v163                               // 000000007D00: 7F460BA3
	v_mul_f32_e32 v160, v22, v160                              // 000000007D04: 0B414116
	v_mul_f32_e32 v161, v22, v161                              // 000000007D08: 0B434316
	v_mul_f32_e32 v162, v22, v162                              // 000000007D0C: 0B454516
	v_mul_f32_e32 v163, v22, v163                              // 000000007D10: 0B474716
	v_mul_f32_dpp v160, v11, v160 row_newbcast:4 row_mask:0xf bank_mask:0xf// 000000007D14: 0B4140FA FF01540B
	v_mul_f32_dpp v161, v11, v161 row_newbcast:5 row_mask:0xf bank_mask:0xf// 000000007D1C: 0B4342FA FF01550B
	v_mul_f32_dpp v162, v11, v162 row_newbcast:6 row_mask:0xf bank_mask:0xf// 000000007D24: 0B4544FA FF01560B
	v_mul_f32_dpp v163, v11, v163 row_newbcast:7 row_mask:0xf bank_mask:0xf// 000000007D2C: 0B4746FA FF01570B
	v_mul_f32_e32 v160, v17, v160                              // 000000007D34: 0B414111
	v_mul_f32_e32 v161, v17, v161                              // 000000007D38: 0B434311
	v_mul_f32_e32 v162, v17, v162                              // 000000007D3C: 0B454511
	v_mul_f32_e32 v163, v17, v163                              // 000000007D40: 0B474711
	v_cvt_f32_i32_e32 v164, v164                               // 000000007D44: 7F480BA4
	v_cvt_f32_i32_e32 v165, v165                               // 000000007D48: 7F4A0BA5
	v_cvt_f32_i32_e32 v166, v166                               // 000000007D4C: 7F4C0BA6
	v_cvt_f32_i32_e32 v167, v167                               // 000000007D50: 7F4E0BA7
	v_mul_f32_e32 v164, v23, v164                              // 000000007D54: 0B494917
	v_mul_f32_e32 v165, v23, v165                              // 000000007D58: 0B4B4B17
	v_mul_f32_e32 v166, v23, v166                              // 000000007D5C: 0B4D4D17
	v_mul_f32_e32 v167, v23, v167                              // 000000007D60: 0B4F4F17
	v_mul_f32_dpp v164, v11, v164 row_newbcast:4 row_mask:0xf bank_mask:0xf// 000000007D64: 0B4948FA FF01540B
	v_mul_f32_dpp v165, v11, v165 row_newbcast:5 row_mask:0xf bank_mask:0xf// 000000007D6C: 0B4B4AFA FF01550B
	v_mul_f32_dpp v166, v11, v166 row_newbcast:6 row_mask:0xf bank_mask:0xf// 000000007D74: 0B4D4CFA FF01560B
	v_mul_f32_dpp v167, v11, v167 row_newbcast:7 row_mask:0xf bank_mask:0xf// 000000007D7C: 0B4F4EFA FF01570B
	v_mul_f32_e32 v164, v18, v164                              // 000000007D84: 0B494912
	v_mul_f32_e32 v165, v18, v165                              // 000000007D88: 0B4B4B12
	v_mul_f32_e32 v166, v18, v166                              // 000000007D8C: 0B4D4D12
	v_mul_f32_e32 v167, v18, v167                              // 000000007D90: 0B4F4F12
	v_cvt_f32_i32_e32 v168, v168                               // 000000007D94: 7F500BA8
	v_cvt_f32_i32_e32 v169, v169                               // 000000007D98: 7F520BA9
	v_cvt_f32_i32_e32 v170, v170                               // 000000007D9C: 7F540BAA
	v_cvt_f32_i32_e32 v171, v171                               // 000000007DA0: 7F560BAB
	v_mul_f32_e32 v168, v22, v168                              // 000000007DA4: 0B515116
	v_mul_f32_e32 v169, v22, v169                              // 000000007DA8: 0B535316
	v_mul_f32_e32 v170, v22, v170                              // 000000007DAC: 0B555516
	v_mul_f32_e32 v171, v22, v171                              // 000000007DB0: 0B575716
	v_mul_f32_dpp v168, v11, v168 row_newbcast:8 row_mask:0xf bank_mask:0xf// 000000007DB4: 0B5150FA FF01580B
	v_mul_f32_dpp v169, v11, v169 row_newbcast:9 row_mask:0xf bank_mask:0xf// 000000007DBC: 0B5352FA FF01590B
	v_mul_f32_dpp v170, v11, v170 row_newbcast:10 row_mask:0xf bank_mask:0xf// 000000007DC4: 0B5554FA FF015A0B
	v_mul_f32_dpp v171, v11, v171 row_newbcast:11 row_mask:0xf bank_mask:0xf// 000000007DCC: 0B5756FA FF015B0B
	v_mul_f32_e32 v168, v17, v168                              // 000000007DD4: 0B515111
	v_mul_f32_e32 v169, v17, v169                              // 000000007DD8: 0B535311
	v_mul_f32_e32 v170, v17, v170                              // 000000007DDC: 0B555511
	v_mul_f32_e32 v171, v17, v171                              // 000000007DE0: 0B575711
	v_cvt_f32_i32_e32 v172, v172                               // 000000007DE4: 7F580BAC
	v_cvt_f32_i32_e32 v173, v173                               // 000000007DE8: 7F5A0BAD
	v_cvt_f32_i32_e32 v174, v174                               // 000000007DEC: 7F5C0BAE
	v_cvt_f32_i32_e32 v175, v175                               // 000000007DF0: 7F5E0BAF
	v_mul_f32_e32 v172, v23, v172                              // 000000007DF4: 0B595917
	v_mul_f32_e32 v173, v23, v173                              // 000000007DF8: 0B5B5B17
	v_mul_f32_e32 v174, v23, v174                              // 000000007DFC: 0B5D5D17
	v_mul_f32_e32 v175, v23, v175                              // 000000007E00: 0B5F5F17
	v_mul_f32_dpp v172, v11, v172 row_newbcast:8 row_mask:0xf bank_mask:0xf// 000000007E04: 0B5958FA FF01580B
	v_mul_f32_dpp v173, v11, v173 row_newbcast:9 row_mask:0xf bank_mask:0xf// 000000007E0C: 0B5B5AFA FF01590B
	v_mul_f32_dpp v174, v11, v174 row_newbcast:10 row_mask:0xf bank_mask:0xf// 000000007E14: 0B5D5CFA FF015A0B
	v_mul_f32_dpp v175, v11, v175 row_newbcast:11 row_mask:0xf bank_mask:0xf// 000000007E1C: 0B5F5EFA FF015B0B
	v_mul_f32_e32 v172, v18, v172                              // 000000007E24: 0B595912
	v_mul_f32_e32 v173, v18, v173                              // 000000007E28: 0B5B5B12
	v_mul_f32_e32 v174, v18, v174                              // 000000007E2C: 0B5D5D12
	v_mul_f32_e32 v175, v18, v175                              // 000000007E30: 0B5F5F12
	v_cvt_f32_i32_e32 v176, v176                               // 000000007E34: 7F600BB0
	v_cvt_f32_i32_e32 v177, v177                               // 000000007E38: 7F620BB1
	v_cvt_f32_i32_e32 v178, v178                               // 000000007E3C: 7F640BB2
	v_cvt_f32_i32_e32 v179, v179                               // 000000007E40: 7F660BB3
	v_mul_f32_e32 v176, v22, v176                              // 000000007E44: 0B616116
	v_mul_f32_e32 v177, v22, v177                              // 000000007E48: 0B636316
	v_mul_f32_e32 v178, v22, v178                              // 000000007E4C: 0B656516
	v_mul_f32_e32 v179, v22, v179                              // 000000007E50: 0B676716
	v_mul_f32_dpp v176, v11, v176 row_newbcast:12 row_mask:0xf bank_mask:0xf// 000000007E54: 0B6160FA FF015C0B
	v_mul_f32_dpp v177, v11, v177 row_newbcast:13 row_mask:0xf bank_mask:0xf// 000000007E5C: 0B6362FA FF015D0B
	v_mul_f32_dpp v178, v11, v178 row_newbcast:14 row_mask:0xf bank_mask:0xf// 000000007E64: 0B6564FA FF015E0B
	v_mul_f32_dpp v179, v11, v179 row_newbcast:15 row_mask:0xf bank_mask:0xf// 000000007E6C: 0B6766FA FF015F0B
	v_mul_f32_e32 v176, v17, v176                              // 000000007E74: 0B616111
	v_mul_f32_e32 v177, v17, v177                              // 000000007E78: 0B636311
	v_mul_f32_e32 v178, v17, v178                              // 000000007E7C: 0B656511
	v_mul_f32_e32 v179, v17, v179                              // 000000007E80: 0B676711
	v_cvt_f32_i32_e32 v180, v180                               // 000000007E84: 7F680BB4
	v_cvt_f32_i32_e32 v181, v181                               // 000000007E88: 7F6A0BB5
	v_cvt_f32_i32_e32 v182, v182                               // 000000007E8C: 7F6C0BB6
	v_cvt_f32_i32_e32 v183, v183                               // 000000007E90: 7F6E0BB7
	v_mul_f32_e32 v180, v23, v180                              // 000000007E94: 0B696917
	v_mul_f32_e32 v181, v23, v181                              // 000000007E98: 0B6B6B17
	v_mul_f32_e32 v182, v23, v182                              // 000000007E9C: 0B6D6D17
	v_mul_f32_e32 v183, v23, v183                              // 000000007EA0: 0B6F6F17
	v_mul_f32_dpp v180, v11, v180 row_newbcast:12 row_mask:0xf bank_mask:0xf// 000000007EA4: 0B6968FA FF015C0B
	v_mul_f32_dpp v181, v11, v181 row_newbcast:13 row_mask:0xf bank_mask:0xf// 000000007EAC: 0B6B6AFA FF015D0B
	v_mul_f32_dpp v182, v11, v182 row_newbcast:14 row_mask:0xf bank_mask:0xf// 000000007EB4: 0B6D6CFA FF015E0B
	v_mul_f32_dpp v183, v11, v183 row_newbcast:15 row_mask:0xf bank_mask:0xf// 000000007EBC: 0B6F6EFA FF015F0B
	v_mul_f32_e32 v180, v18, v180                              // 000000007EC4: 0B696912
	v_mul_f32_e32 v181, v18, v181                              // 000000007EC8: 0B6B6B12
	v_mul_f32_e32 v182, v18, v182                              // 000000007ECC: 0B6D6D12
	v_mul_f32_e32 v183, v18, v183                              // 000000007ED0: 0B6F6F12
	v_cmp_u_f32_e64 s[48:49], v152, v152                       // 000000007ED4: D0480030 00033198
	v_add3_u32 v39, v152, v42, 1                               // 000000007EDC: D1FF0027 02065598
	v_cndmask_b32_e64 v44, v39, v41, s[48:49]                  // 000000007EE4: D100002C 00C25327
	v_cmp_u_f32_e64 s[48:49], v153, v153                       // 000000007EEC: D0480030 00033399
	v_add3_u32 v39, v153, v42, 1                               // 000000007EF4: D1FF0027 02065599
	v_cndmask_b32_e64 v45, v39, v41, s[48:49]                  // 000000007EFC: D100002D 00C25327
	v_perm_b32 v152, v45, v44, s52                             // 000000007F04: D1ED0098 00D2592D
	v_cmp_u_f32_e64 s[48:49], v154, v154                       // 000000007F0C: D0480030 0003359A
	v_add3_u32 v39, v154, v42, 1                               // 000000007F14: D1FF0027 0206559A
	v_cndmask_b32_e64 v44, v39, v41, s[48:49]                  // 000000007F1C: D100002C 00C25327
	v_cmp_u_f32_e64 s[48:49], v155, v155                       // 000000007F24: D0480030 0003379B
	v_add3_u32 v39, v155, v42, 1                               // 000000007F2C: D1FF0027 0206559B
	v_cndmask_b32_e64 v45, v39, v41, s[48:49]                  // 000000007F34: D100002D 00C25327
	v_perm_b32 v153, v45, v44, s52                             // 000000007F3C: D1ED0099 00D2592D
	v_cmp_u_f32_e64 s[48:49], v156, v156                       // 000000007F44: D0480030 0003399C
	v_add3_u32 v39, v156, v42, 1                               // 000000007F4C: D1FF0027 0206559C
	v_cndmask_b32_e64 v44, v39, v41, s[48:49]                  // 000000007F54: D100002C 00C25327
	v_cmp_u_f32_e64 s[48:49], v157, v157                       // 000000007F5C: D0480030 00033B9D
	v_add3_u32 v39, v157, v42, 1                               // 000000007F64: D1FF0027 0206559D
	v_cndmask_b32_e64 v45, v39, v41, s[48:49]                  // 000000007F6C: D100002D 00C25327
	v_perm_b32 v154, v45, v44, s52                             // 000000007F74: D1ED009A 00D2592D
	v_cmp_u_f32_e64 s[48:49], v158, v158                       // 000000007F7C: D0480030 00033D9E
	v_add3_u32 v39, v158, v42, 1                               // 000000007F84: D1FF0027 0206559E
	v_cndmask_b32_e64 v44, v39, v41, s[48:49]                  // 000000007F8C: D100002C 00C25327
	v_cmp_u_f32_e64 s[48:49], v159, v159                       // 000000007F94: D0480030 00033F9F
	v_add3_u32 v39, v159, v42, 1                               // 000000007F9C: D1FF0027 0206559F
	v_cndmask_b32_e64 v45, v39, v41, s[48:49]                  // 000000007FA4: D100002D 00C25327
	v_perm_b32 v155, v45, v44, s52                             // 000000007FAC: D1ED009B 00D2592D
	v_cmp_u_f32_e64 s[48:49], v160, v160                       // 000000007FB4: D0480030 000341A0
	v_add3_u32 v39, v160, v42, 1                               // 000000007FBC: D1FF0027 020655A0
	v_cndmask_b32_e64 v44, v39, v41, s[48:49]                  // 000000007FC4: D100002C 00C25327
	v_cmp_u_f32_e64 s[48:49], v161, v161                       // 000000007FCC: D0480030 000343A1
	v_add3_u32 v39, v161, v42, 1                               // 000000007FD4: D1FF0027 020655A1
	v_cndmask_b32_e64 v45, v39, v41, s[48:49]                  // 000000007FDC: D100002D 00C25327
	v_perm_b32 v156, v45, v44, s52                             // 000000007FE4: D1ED009C 00D2592D
	v_cmp_u_f32_e64 s[48:49], v162, v162                       // 000000007FEC: D0480030 000345A2
	v_add3_u32 v39, v162, v42, 1                               // 000000007FF4: D1FF0027 020655A2
	v_cndmask_b32_e64 v44, v39, v41, s[48:49]                  // 000000007FFC: D100002C 00C25327
	v_cmp_u_f32_e64 s[48:49], v163, v163                       // 000000008004: D0480030 000347A3
	v_add3_u32 v39, v163, v42, 1                               // 00000000800C: D1FF0027 020655A3
	v_cndmask_b32_e64 v45, v39, v41, s[48:49]                  // 000000008014: D100002D 00C25327
	v_perm_b32 v157, v45, v44, s52                             // 00000000801C: D1ED009D 00D2592D
	v_cmp_u_f32_e64 s[48:49], v164, v164                       // 000000008024: D0480030 000349A4
	v_add3_u32 v39, v164, v42, 1                               // 00000000802C: D1FF0027 020655A4
	v_cndmask_b32_e64 v44, v39, v41, s[48:49]                  // 000000008034: D100002C 00C25327
	v_cmp_u_f32_e64 s[48:49], v165, v165                       // 00000000803C: D0480030 00034BA5
	v_add3_u32 v39, v165, v42, 1                               // 000000008044: D1FF0027 020655A5
	v_cndmask_b32_e64 v45, v39, v41, s[48:49]                  // 00000000804C: D100002D 00C25327
	v_perm_b32 v158, v45, v44, s52                             // 000000008054: D1ED009E 00D2592D
	v_cmp_u_f32_e64 s[48:49], v166, v166                       // 00000000805C: D0480030 00034DA6
	v_add3_u32 v39, v166, v42, 1                               // 000000008064: D1FF0027 020655A6
	v_cndmask_b32_e64 v44, v39, v41, s[48:49]                  // 00000000806C: D100002C 00C25327
	v_cmp_u_f32_e64 s[48:49], v167, v167                       // 000000008074: D0480030 00034FA7
	v_add3_u32 v39, v167, v42, 1                               // 00000000807C: D1FF0027 020655A7
	v_cndmask_b32_e64 v45, v39, v41, s[48:49]                  // 000000008084: D100002D 00C25327
	v_perm_b32 v159, v45, v44, s52                             // 00000000808C: D1ED009F 00D2592D
	v_cmp_u_f32_e64 s[48:49], v168, v168                       // 000000008094: D0480030 000351A8
	v_add3_u32 v39, v168, v42, 1                               // 00000000809C: D1FF0027 020655A8
	v_cndmask_b32_e64 v44, v39, v41, s[48:49]                  // 0000000080A4: D100002C 00C25327
	v_cmp_u_f32_e64 s[48:49], v169, v169                       // 0000000080AC: D0480030 000353A9
	v_add3_u32 v39, v169, v42, 1                               // 0000000080B4: D1FF0027 020655A9
	v_cndmask_b32_e64 v45, v39, v41, s[48:49]                  // 0000000080BC: D100002D 00C25327
	v_perm_b32 v160, v45, v44, s52                             // 0000000080C4: D1ED00A0 00D2592D
	v_cmp_u_f32_e64 s[48:49], v170, v170                       // 0000000080CC: D0480030 000355AA
	v_add3_u32 v39, v170, v42, 1                               // 0000000080D4: D1FF0027 020655AA
	v_cndmask_b32_e64 v44, v39, v41, s[48:49]                  // 0000000080DC: D100002C 00C25327
	v_cmp_u_f32_e64 s[48:49], v171, v171                       // 0000000080E4: D0480030 000357AB
	v_add3_u32 v39, v171, v42, 1                               // 0000000080EC: D1FF0027 020655AB
	v_cndmask_b32_e64 v45, v39, v41, s[48:49]                  // 0000000080F4: D100002D 00C25327
	v_perm_b32 v161, v45, v44, s52                             // 0000000080FC: D1ED00A1 00D2592D
	v_cmp_u_f32_e64 s[48:49], v172, v172                       // 000000008104: D0480030 000359AC
	v_add3_u32 v39, v172, v42, 1                               // 00000000810C: D1FF0027 020655AC
	v_cndmask_b32_e64 v44, v39, v41, s[48:49]                  // 000000008114: D100002C 00C25327
	v_cmp_u_f32_e64 s[48:49], v173, v173                       // 00000000811C: D0480030 00035BAD
	v_add3_u32 v39, v173, v42, 1                               // 000000008124: D1FF0027 020655AD
	v_cndmask_b32_e64 v45, v39, v41, s[48:49]                  // 00000000812C: D100002D 00C25327
	v_perm_b32 v162, v45, v44, s52                             // 000000008134: D1ED00A2 00D2592D
	v_cmp_u_f32_e64 s[48:49], v174, v174                       // 00000000813C: D0480030 00035DAE
	v_add3_u32 v39, v174, v42, 1                               // 000000008144: D1FF0027 020655AE
	v_cndmask_b32_e64 v44, v39, v41, s[48:49]                  // 00000000814C: D100002C 00C25327
	v_cmp_u_f32_e64 s[48:49], v175, v175                       // 000000008154: D0480030 00035FAF
	v_add3_u32 v39, v175, v42, 1                               // 00000000815C: D1FF0027 020655AF
	v_cndmask_b32_e64 v45, v39, v41, s[48:49]                  // 000000008164: D100002D 00C25327
	v_perm_b32 v163, v45, v44, s52                             // 00000000816C: D1ED00A3 00D2592D
	v_cmp_u_f32_e64 s[48:49], v176, v176                       // 000000008174: D0480030 000361B0
	v_add3_u32 v39, v176, v42, 1                               // 00000000817C: D1FF0027 020655B0
	v_cndmask_b32_e64 v44, v39, v41, s[48:49]                  // 000000008184: D100002C 00C25327
	v_cmp_u_f32_e64 s[48:49], v177, v177                       // 00000000818C: D0480030 000363B1
	v_add3_u32 v39, v177, v42, 1                               // 000000008194: D1FF0027 020655B1
	v_cndmask_b32_e64 v45, v39, v41, s[48:49]                  // 00000000819C: D100002D 00C25327
	v_perm_b32 v164, v45, v44, s52                             // 0000000081A4: D1ED00A4 00D2592D
	v_cmp_u_f32_e64 s[48:49], v178, v178                       // 0000000081AC: D0480030 000365B2
	v_add3_u32 v39, v178, v42, 1                               // 0000000081B4: D1FF0027 020655B2
	v_cndmask_b32_e64 v44, v39, v41, s[48:49]                  // 0000000081BC: D100002C 00C25327
	v_cmp_u_f32_e64 s[48:49], v179, v179                       // 0000000081C4: D0480030 000367B3
	v_add3_u32 v39, v179, v42, 1                               // 0000000081CC: D1FF0027 020655B3
	v_cndmask_b32_e64 v45, v39, v41, s[48:49]                  // 0000000081D4: D100002D 00C25327
	v_perm_b32 v165, v45, v44, s52                             // 0000000081DC: D1ED00A5 00D2592D
	v_cmp_u_f32_e64 s[48:49], v180, v180                       // 0000000081E4: D0480030 000369B4
	v_add3_u32 v39, v180, v42, 1                               // 0000000081EC: D1FF0027 020655B4
	v_cndmask_b32_e64 v44, v39, v41, s[48:49]                  // 0000000081F4: D100002C 00C25327
	v_cmp_u_f32_e64 s[48:49], v181, v181                       // 0000000081FC: D0480030 00036BB5
	v_add3_u32 v39, v181, v42, 1                               // 000000008204: D1FF0027 020655B5
	v_cndmask_b32_e64 v45, v39, v41, s[48:49]                  // 00000000820C: D100002D 00C25327
	v_perm_b32 v166, v45, v44, s52                             // 000000008214: D1ED00A6 00D2592D
	v_cmp_u_f32_e64 s[48:49], v182, v182                       // 00000000821C: D0480030 00036DB6
	v_add3_u32 v39, v182, v42, 1                               // 000000008224: D1FF0027 020655B6
	v_cndmask_b32_e64 v44, v39, v41, s[48:49]                  // 00000000822C: D100002C 00C25327
	v_cmp_u_f32_e64 s[48:49], v183, v183                       // 000000008234: D0480030 00036FB7
	v_add3_u32 v39, v183, v42, 1                               // 00000000823C: D1FF0027 020655B7
	v_cndmask_b32_e64 v45, v39, v41, s[48:49]                  // 000000008244: D100002D 00C25327
	v_perm_b32 v167, v45, v44, s52                             // 00000000824C: D1ED00A7 00D2592D
	ds_write_b64 v3, v[152:153] offset:24832                   // 000000008254: D89A6100 00009803
	ds_write_b64 v3, v[154:155] offset:33536                   // 00000000825C: D89A8300 00009A03
	ds_write_b64 v3, v[156:157] offset:27008                   // 000000008264: D89A6980 00009C03
	ds_write_b64 v3, v[158:159] offset:35712                   // 00000000826C: D89A8B80 00009E03
	ds_write_b64 v3, v[160:161] offset:29184                   // 000000008274: D89A7200 0000A003
	ds_write_b64 v3, v[162:163] offset:37888                   // 00000000827C: D89A9400 0000A203
	ds_write_b64 v3, v[164:165] offset:31360                   // 000000008284: D89A7A80 0000A403
	ds_write_b64 v3, v[166:167] offset:40064                   // 00000000828C: D89A9C80 0000A603
	s_waitcnt lgkmcnt(0)                                       // 000000008294: BF8CC07F
	s_barrier                                                  // 000000008298: BF8A0000
	ds_read_b32 v64, v4 offset:24832                           // 00000000829C: D86C6100 40000004
	ds_read_b32 v65, v4 offset:29184                           // 0000000082A4: D86C7200 41000004
	ds_read_b32 v66, v4 offset:24864                           // 0000000082AC: D86C6120 42000004
	ds_read_b32 v67, v4 offset:29216                           // 0000000082B4: D86C7220 43000004
	ds_read_b32 v68, v4 offset:24896                           // 0000000082BC: D86C6140 44000004
	ds_read_b32 v69, v4 offset:29248                           // 0000000082C4: D86C7240 45000004
	ds_read_b32 v70, v4 offset:24928                           // 0000000082CC: D86C6160 46000004
	ds_read_b32 v71, v4 offset:29280                           // 0000000082D4: D86C7260 47000004
	ds_read_b32 v72, v4 offset:33536                           // 0000000082DC: D86C8300 48000004
	ds_read_b32 v73, v4 offset:37888                           // 0000000082E4: D86C9400 49000004
	ds_read_b32 v74, v4 offset:33568                           // 0000000082EC: D86C8320 4A000004
	ds_read_b32 v75, v4 offset:37920                           // 0000000082F4: D86C9420 4B000004
	ds_read_b32 v76, v4 offset:33600                           // 0000000082FC: D86C8340 4C000004
	ds_read_b32 v77, v4 offset:37952                           // 000000008304: D86C9440 4D000004
	ds_read_b32 v78, v4 offset:33632                           // 00000000830C: D86C8360 4E000004
	ds_read_b32 v79, v4 offset:37984                           // 000000008314: D86C9460 4F000004
	s_waitcnt lgkmcnt(0)                                       // 00000000831C: BF8CC07F
	s_mov_b64 exec, s[20:21]                                   // 000000008320: BEFE0114
	global_atomic_pk_add_bf16 v80, v64, s[8:9]                 // 000000008324: DD488000 00084050
	s_mov_b64 exec, s[36:37]                                   // 00000000832C: BEFE0124
	s_mov_b64 exec, s[20:21]                                   // 000000008330: BEFE0114
	global_atomic_pk_add_bf16 v80, v65, s[8:9] offset:256      // 000000008334: DD488100 00084150
	s_mov_b64 exec, s[36:37]                                   // 00000000833C: BEFE0124
	s_mov_b64 exec, s[22:23]                                   // 000000008340: BEFE0116
	global_atomic_pk_add_bf16 v82, v66, s[8:9]                 // 000000008344: DD488000 00084252
	s_mov_b64 exec, s[36:37]                                   // 00000000834C: BEFE0124
	s_mov_b64 exec, s[22:23]                                   // 000000008350: BEFE0116
	global_atomic_pk_add_bf16 v82, v67, s[8:9] offset:256      // 000000008354: DD488100 00084352
	s_mov_b64 exec, s[36:37]                                   // 00000000835C: BEFE0124
	s_mov_b64 exec, s[24:25]                                   // 000000008360: BEFE0118
	global_atomic_pk_add_bf16 v84, v68, s[8:9]                 // 000000008364: DD488000 00084454
	s_mov_b64 exec, s[36:37]                                   // 00000000836C: BEFE0124
	s_mov_b64 exec, s[24:25]                                   // 000000008370: BEFE0118
	global_atomic_pk_add_bf16 v84, v69, s[8:9] offset:256      // 000000008374: DD488100 00084554
	s_mov_b64 exec, s[36:37]                                   // 00000000837C: BEFE0124
	s_mov_b64 exec, s[26:27]                                   // 000000008380: BEFE011A
	global_atomic_pk_add_bf16 v86, v70, s[8:9]                 // 000000008384: DD488000 00084656
	s_mov_b64 exec, s[36:37]                                   // 00000000838C: BEFE0124
	s_mov_b64 exec, s[26:27]                                   // 000000008390: BEFE011A
	global_atomic_pk_add_bf16 v86, v71, s[8:9] offset:256      // 000000008394: DD488100 00084756
	s_mov_b64 exec, s[36:37]                                   // 00000000839C: BEFE0124
	s_mov_b64 exec, s[28:29]                                   // 0000000083A0: BEFE011C
	global_atomic_pk_add_bf16 v88, v72, s[8:9]                 // 0000000083A4: DD488000 00084858
	s_mov_b64 exec, s[36:37]                                   // 0000000083AC: BEFE0124
	s_mov_b64 exec, s[28:29]                                   // 0000000083B0: BEFE011C
	global_atomic_pk_add_bf16 v88, v73, s[8:9] offset:256      // 0000000083B4: DD488100 00084958
	s_mov_b64 exec, s[36:37]                                   // 0000000083BC: BEFE0124
	s_mov_b64 exec, s[30:31]                                   // 0000000083C0: BEFE011E
	global_atomic_pk_add_bf16 v90, v74, s[8:9]                 // 0000000083C4: DD488000 00084A5A
	s_mov_b64 exec, s[36:37]                                   // 0000000083CC: BEFE0124
	s_mov_b64 exec, s[30:31]                                   // 0000000083D0: BEFE011E
	global_atomic_pk_add_bf16 v90, v75, s[8:9] offset:256      // 0000000083D4: DD488100 00084B5A
	s_mov_b64 exec, s[36:37]                                   // 0000000083DC: BEFE0124
	s_mov_b64 exec, s[32:33]                                   // 0000000083E0: BEFE0120
	global_atomic_pk_add_bf16 v92, v76, s[8:9]                 // 0000000083E4: DD488000 00084C5C
	s_mov_b64 exec, s[36:37]                                   // 0000000083EC: BEFE0124
	s_mov_b64 exec, s[32:33]                                   // 0000000083F0: BEFE0120
	global_atomic_pk_add_bf16 v92, v77, s[8:9] offset:256      // 0000000083F4: DD488100 00084D5C
	s_mov_b64 exec, s[36:37]                                   // 0000000083FC: BEFE0124
	s_mov_b64 exec, s[34:35]                                   // 000000008400: BEFE0122
	global_atomic_pk_add_bf16 v94, v78, s[8:9]                 // 000000008404: DD488000 00084E5E
	s_mov_b64 exec, s[36:37]                                   // 00000000840C: BEFE0124
	s_mov_b64 exec, s[34:35]                                   // 000000008410: BEFE0122
	global_atomic_pk_add_bf16 v94, v79, s[8:9] offset:256      // 000000008414: DD488100 00084F5E
	s_mov_b64 exec, s[36:37]                                   // 00000000841C: BEFE0124
	s_add_u32 s8, s59, s8                                      // 000000008420: 8008083B
	s_addc_u32 s9, 0, s9                                       // 000000008424: 82090980
	s_addk_i32 s80, 0x100                                      // 000000008428: B7500100
	s_cmp_lt_i32 s80, s81                                      // 00000000842C: BF045150
	s_cbranch_scc0 label_0D32                                  // 000000008430: BF84F7A5
	s_waitcnt vmcnt(25)                                        // 000000008434: BF8C4F79
	s_barrier                                                  // 000000008438: BF8A0000
	v_mfma_i32_16x16x32_i8 v[184:187], a[48:49], v[128:129], 0 // 00000000843C: D3D700B8 0A030130
	buffer_load_dwordx4 a[0:3], v35, s[12:15], 0 offen         // 000000008444: E05C1000 80830023
	v_mfma_i32_16x16x32_i8 v[184:187], a[50:51], v[130:131], v[184:187]// 00000000844C: D3D700B8 0EE30532
	v_mfma_i32_16x16x32_i8 v[188:191], a[48:49], v[140:141], 0 // 000000008454: D3D700BC 0A031930
	v_mfma_i32_16x16x32_i8 v[188:191], a[50:51], v[142:143], v[188:191]// 00000000845C: D3D700BC 0EF31D32
	v_mfma_i32_16x16x32_i8 v[192:195], a[52:53], v[128:129], 0 // 000000008464: D3D700C0 0A030134
	buffer_load_dwordx4 a[4:7], v36, s[12:15], 0 offen         // 00000000846C: E05C1000 80830424
	v_mfma_i32_16x16x32_i8 v[192:195], a[54:55], v[130:131], v[192:195]// 000000008474: D3D700C0 0F030536
	v_mfma_i32_16x16x32_i8 v[196:199], a[52:53], v[140:141], 0 // 00000000847C: D3D700C4 0A031934
	v_mfma_i32_16x16x32_i8 v[196:199], a[54:55], v[142:143], v[196:199]// 000000008484: D3D700C4 0F131D36
	v_mfma_i32_16x16x32_i8 v[200:203], a[56:57], v[128:129], 0 // 00000000848C: D3D700C8 0A030138
	buffer_load_dwordx4 a[8:11], v37, s[12:15], 0 offen        // 000000008494: E05C1000 80830825
	v_mfma_i32_16x16x32_i8 v[200:203], a[58:59], v[130:131], v[200:203]// 00000000849C: D3D700C8 0F23053A
	v_mfma_i32_16x16x32_i8 v[204:207], a[56:57], v[140:141], 0 // 0000000084A4: D3D700CC 0A031938
	v_mfma_i32_16x16x32_i8 v[204:207], a[58:59], v[142:143], v[204:207]// 0000000084AC: D3D700CC 0F331D3A
	v_mfma_i32_16x16x32_i8 v[208:211], a[60:61], v[128:129], 0 // 0000000084B4: D3D700D0 0A03013C
	buffer_load_dwordx4 a[12:15], v38, s[12:15], 0 offen       // 0000000084BC: E05C1000 80830C26
	s_add_u32 s12, s78, s12                                    // 0000000084C4: 800C0C4E
	s_addc_u32 s13, 0, s13                                     // 0000000084C8: 820D0D80
	v_mfma_i32_16x16x32_i8 v[208:211], a[62:63], v[130:131], v[208:211]// 0000000084CC: D3D700D0 0F43053E
	v_mfma_i32_16x16x32_i8 v[212:215], a[60:61], v[140:141], 0 // 0000000084D4: D3D700D4 0A03193C
	v_mfma_i32_16x16x32_i8 v[212:215], a[62:63], v[142:143], v[212:215]// 0000000084DC: D3D700D4 0F531D3E
	s_waitcnt vmcnt(25)                                        // 0000000084E4: BF8C4F79
	v_mfma_i32_16x16x32_i8 v[184:187], a[64:65], v[132:133], v[184:187]// 0000000084E8: D3D700B8 0EE30940
	buffer_load_dwordx4 a[16:19], v35, s[12:15], 0 offen       // 0000000084F0: E05C1000 80831023
	v_mfma_i32_16x16x32_i8 v[184:187], a[66:67], v[134:135], v[184:187]// 0000000084F8: D3D700B8 0EE30D42
	v_mfma_i32_16x16x32_i8 v[188:191], a[64:65], v[144:145], v[188:191]// 000000008500: D3D700BC 0EF32140
	v_mfma_i32_16x16x32_i8 v[188:191], a[66:67], v[146:147], v[188:191]// 000000008508: D3D700BC 0EF32542
	v_mfma_i32_16x16x32_i8 v[192:195], a[68:69], v[132:133], v[192:195]// 000000008510: D3D700C0 0F030944
	buffer_load_dwordx4 a[20:23], v36, s[12:15], 0 offen       // 000000008518: E05C1000 80831424
	v_mfma_i32_16x16x32_i8 v[192:195], a[70:71], v[134:135], v[192:195]// 000000008520: D3D700C0 0F030D46
	v_mfma_i32_16x16x32_i8 v[196:199], a[68:69], v[144:145], v[196:199]// 000000008528: D3D700C4 0F132144
	v_mfma_i32_16x16x32_i8 v[196:199], a[70:71], v[146:147], v[196:199]// 000000008530: D3D700C4 0F132546
	v_mfma_i32_16x16x32_i8 v[200:203], a[72:73], v[132:133], v[200:203]// 000000008538: D3D700C8 0F230948
	buffer_load_dwordx4 a[24:27], v37, s[12:15], 0 offen       // 000000008540: E05C1000 80831825
	v_mfma_i32_16x16x32_i8 v[200:203], a[74:75], v[134:135], v[200:203]// 000000008548: D3D700C8 0F230D4A
	v_mfma_i32_16x16x32_i8 v[204:207], a[72:73], v[144:145], v[204:207]// 000000008550: D3D700CC 0F332148
	v_mfma_i32_16x16x32_i8 v[204:207], a[74:75], v[146:147], v[204:207]// 000000008558: D3D700CC 0F33254A
	v_mfma_i32_16x16x32_i8 v[208:211], a[76:77], v[132:133], v[208:211]// 000000008560: D3D700D0 0F43094C
	buffer_load_dwordx4 a[28:31], v38, s[12:15], 0 offen       // 000000008568: E05C1000 80831C26
	s_add_u32 s12, s78, s12                                    // 000000008570: 800C0C4E
	s_addc_u32 s13, 0, s13                                     // 000000008574: 820D0D80
	v_mfma_i32_16x16x32_i8 v[208:211], a[78:79], v[134:135], v[208:211]// 000000008578: D3D700D0 0F430D4E
	v_mfma_i32_16x16x32_i8 v[212:215], a[76:77], v[144:145], v[212:215]// 000000008580: D3D700D4 0F53214C
	v_mfma_i32_16x16x32_i8 v[212:215], a[78:79], v[146:147], v[212:215]// 000000008588: D3D700D4 0F53254E
	s_waitcnt vmcnt(24)                                        // 000000008590: BF8C4F78
	v_mfma_i32_16x16x32_i8 v[184:187], a[80:81], v[136:137], v[184:187]// 000000008594: D3D700B8 0EE31150
	buffer_load_dwordx4 a[32:35], v35, s[12:15], 0 offen       // 00000000859C: E05C1000 80832023
	v_mfma_i32_16x16x32_i8 v[184:187], a[82:83], v[138:139], v[184:187]// 0000000085A4: D3D700B8 0EE31552
	v_mfma_i32_16x16x32_i8 v[188:191], a[80:81], v[148:149], v[188:191]// 0000000085AC: D3D700BC 0EF32950
	buffer_load_dword v11, v5, s[16:19], 0 offen               // 0000000085B4: E0501000 80040B05
	v_mfma_i32_16x16x32_i8 v[188:191], a[82:83], v[150:151], v[188:191]// 0000000085BC: D3D700BC 0EF32D52
	v_mfma_i32_16x16x32_i8 v[192:195], a[84:85], v[136:137], v[192:195]// 0000000085C4: D3D700C0 0F031154
	buffer_load_dwordx4 a[36:39], v36, s[12:15], 0 offen       // 0000000085CC: E05C1000 80832424
	v_mfma_i32_16x16x32_i8 v[192:195], a[86:87], v[138:139], v[192:195]// 0000000085D4: D3D700C0 0F031556
	v_mfma_i32_16x16x32_i8 v[196:199], a[84:85], v[148:149], v[196:199]// 0000000085DC: D3D700C4 0F132954
	v_mfma_i32_16x16x32_i8 v[196:199], a[86:87], v[150:151], v[196:199]// 0000000085E4: D3D700C4 0F132D56
	v_mfma_i32_16x16x32_i8 v[200:203], a[88:89], v[136:137], v[200:203]// 0000000085EC: D3D700C8 0F231158
	buffer_load_dwordx4 a[40:43], v37, s[12:15], 0 offen       // 0000000085F4: E05C1000 80832825
	v_mfma_i32_16x16x32_i8 v[200:203], a[90:91], v[138:139], v[200:203]// 0000000085FC: D3D700C8 0F23155A
	v_mfma_i32_16x16x32_i8 v[204:207], a[88:89], v[148:149], v[204:207]// 000000008604: D3D700CC 0F332958
	v_mfma_i32_16x16x32_i8 v[204:207], a[90:91], v[150:151], v[204:207]// 00000000860C: D3D700CC 0F332D5A
	v_mfma_i32_16x16x32_i8 v[208:211], a[92:93], v[136:137], v[208:211]// 000000008614: D3D700D0 0F43115C
	buffer_load_dwordx4 a[44:47], v38, s[12:15], 0 offen       // 00000000861C: E05C1000 80832C26
	v_mfma_i32_16x16x32_i8 v[208:211], a[94:95], v[138:139], v[208:211]// 000000008624: D3D700D0 0F43155E
	v_mfma_i32_16x16x32_i8 v[212:215], a[92:93], v[148:149], v[212:215]// 00000000862C: D3D700D4 0F53295C
	v_mfma_i32_16x16x32_i8 v[212:215], a[94:95], v[150:151], v[212:215]// 000000008634: D3D700D4 0F532D5E
	s_add_u32 s60, 0x200, s80                                  // 00000000863C: 803C50FF 00000200
	s_cmp_lt_u32 s60, s81                                      // 000000008644: BF0A513C
	s_cselect_b32 s56, s56, 0                                  // 000000008648: 85388038
	s_cselect_b32 s78, s78, 0                                  // 00000000864C: 854E804E
	s_cselect_b32 s79, s79, 0                                  // 000000008650: 854F804F
	s_add_u32 s12, s56, s12                                    // 000000008654: 800C0C38
	s_addc_u32 s13, 0, s13                                     // 000000008658: 820D0D80
	s_add_u32 s16, s79, s16                                    // 00000000865C: 8010104F
	s_addc_u32 s17, 0, s17                                     // 000000008660: 82111180
	v_cvt_f32_i32_e32 v184, v184                               // 000000008664: 7F700BB8
	v_cvt_f32_i32_e32 v185, v185                               // 000000008668: 7F720BB9
	v_cvt_f32_i32_e32 v186, v186                               // 00000000866C: 7F740BBA
	v_cvt_f32_i32_e32 v187, v187                               // 000000008670: 7F760BBB
	v_mul_f32_e32 v184, v22, v184                              // 000000008674: 0B717116
	v_mul_f32_e32 v185, v22, v185                              // 000000008678: 0B737316
	v_mul_f32_e32 v186, v22, v186                              // 00000000867C: 0B757516
	v_mul_f32_e32 v187, v22, v187                              // 000000008680: 0B777716
	v_mul_f32_dpp v184, v12, v184 row_newbcast:0 row_mask:0xf bank_mask:0xf// 000000008684: 0B7170FA FF01500C
	v_mul_f32_dpp v185, v12, v185 row_newbcast:1 row_mask:0xf bank_mask:0xf// 00000000868C: 0B7372FA FF01510C
	v_mul_f32_dpp v186, v12, v186 row_newbcast:2 row_mask:0xf bank_mask:0xf// 000000008694: 0B7574FA FF01520C
	v_mul_f32_dpp v187, v12, v187 row_newbcast:3 row_mask:0xf bank_mask:0xf// 00000000869C: 0B7776FA FF01530C
	v_mul_f32_e32 v184, v17, v184                              // 0000000086A4: 0B717111
	v_mul_f32_e32 v185, v17, v185                              // 0000000086A8: 0B737311
	v_mul_f32_e32 v186, v17, v186                              // 0000000086AC: 0B757511
	v_mul_f32_e32 v187, v17, v187                              // 0000000086B0: 0B777711
	v_cvt_f32_i32_e32 v188, v188                               // 0000000086B4: 7F780BBC
	v_cvt_f32_i32_e32 v189, v189                               // 0000000086B8: 7F7A0BBD
	v_cvt_f32_i32_e32 v190, v190                               // 0000000086BC: 7F7C0BBE
	v_cvt_f32_i32_e32 v191, v191                               // 0000000086C0: 7F7E0BBF
	v_mul_f32_e32 v188, v23, v188                              // 0000000086C4: 0B797917
	v_mul_f32_e32 v189, v23, v189                              // 0000000086C8: 0B7B7B17
	v_mul_f32_e32 v190, v23, v190                              // 0000000086CC: 0B7D7D17
	v_mul_f32_e32 v191, v23, v191                              // 0000000086D0: 0B7F7F17
	v_mul_f32_dpp v188, v12, v188 row_newbcast:0 row_mask:0xf bank_mask:0xf// 0000000086D4: 0B7978FA FF01500C
	v_mul_f32_dpp v189, v12, v189 row_newbcast:1 row_mask:0xf bank_mask:0xf// 0000000086DC: 0B7B7AFA FF01510C
	v_mul_f32_dpp v190, v12, v190 row_newbcast:2 row_mask:0xf bank_mask:0xf// 0000000086E4: 0B7D7CFA FF01520C
	v_mul_f32_dpp v191, v12, v191 row_newbcast:3 row_mask:0xf bank_mask:0xf// 0000000086EC: 0B7F7EFA FF01530C
	v_mul_f32_e32 v188, v18, v188                              // 0000000086F4: 0B797912
	v_mul_f32_e32 v189, v18, v189                              // 0000000086F8: 0B7B7B12
	v_mul_f32_e32 v190, v18, v190                              // 0000000086FC: 0B7D7D12
	v_mul_f32_e32 v191, v18, v191                              // 000000008700: 0B7F7F12
	v_cvt_f32_i32_e32 v192, v192                               // 000000008704: 7F800BC0
	v_cvt_f32_i32_e32 v193, v193                               // 000000008708: 7F820BC1
	v_cvt_f32_i32_e32 v194, v194                               // 00000000870C: 7F840BC2
	v_cvt_f32_i32_e32 v195, v195                               // 000000008710: 7F860BC3
	v_mul_f32_e32 v192, v22, v192                              // 000000008714: 0B818116
	v_mul_f32_e32 v193, v22, v193                              // 000000008718: 0B838316
	v_mul_f32_e32 v194, v22, v194                              // 00000000871C: 0B858516
	v_mul_f32_e32 v195, v22, v195                              // 000000008720: 0B878716
	v_mul_f32_dpp v192, v12, v192 row_newbcast:4 row_mask:0xf bank_mask:0xf// 000000008724: 0B8180FA FF01540C
	v_mul_f32_dpp v193, v12, v193 row_newbcast:5 row_mask:0xf bank_mask:0xf// 00000000872C: 0B8382FA FF01550C
	v_mul_f32_dpp v194, v12, v194 row_newbcast:6 row_mask:0xf bank_mask:0xf// 000000008734: 0B8584FA FF01560C
	v_mul_f32_dpp v195, v12, v195 row_newbcast:7 row_mask:0xf bank_mask:0xf// 00000000873C: 0B8786FA FF01570C
	v_mul_f32_e32 v192, v17, v192                              // 000000008744: 0B818111
	v_mul_f32_e32 v193, v17, v193                              // 000000008748: 0B838311
	v_mul_f32_e32 v194, v17, v194                              // 00000000874C: 0B858511
	v_mul_f32_e32 v195, v17, v195                              // 000000008750: 0B878711
	v_cvt_f32_i32_e32 v196, v196                               // 000000008754: 7F880BC4
	v_cvt_f32_i32_e32 v197, v197                               // 000000008758: 7F8A0BC5
	v_cvt_f32_i32_e32 v198, v198                               // 00000000875C: 7F8C0BC6
	v_cvt_f32_i32_e32 v199, v199                               // 000000008760: 7F8E0BC7
	v_mul_f32_e32 v196, v23, v196                              // 000000008764: 0B898917
	v_mul_f32_e32 v197, v23, v197                              // 000000008768: 0B8B8B17
	v_mul_f32_e32 v198, v23, v198                              // 00000000876C: 0B8D8D17
	v_mul_f32_e32 v199, v23, v199                              // 000000008770: 0B8F8F17
	v_mul_f32_dpp v196, v12, v196 row_newbcast:4 row_mask:0xf bank_mask:0xf// 000000008774: 0B8988FA FF01540C
	v_mul_f32_dpp v197, v12, v197 row_newbcast:5 row_mask:0xf bank_mask:0xf// 00000000877C: 0B8B8AFA FF01550C
	v_mul_f32_dpp v198, v12, v198 row_newbcast:6 row_mask:0xf bank_mask:0xf// 000000008784: 0B8D8CFA FF01560C
	v_mul_f32_dpp v199, v12, v199 row_newbcast:7 row_mask:0xf bank_mask:0xf// 00000000878C: 0B8F8EFA FF01570C
	v_mul_f32_e32 v196, v18, v196                              // 000000008794: 0B898912
	v_mul_f32_e32 v197, v18, v197                              // 000000008798: 0B8B8B12
	v_mul_f32_e32 v198, v18, v198                              // 00000000879C: 0B8D8D12
	v_mul_f32_e32 v199, v18, v199                              // 0000000087A0: 0B8F8F12
	v_cvt_f32_i32_e32 v200, v200                               // 0000000087A4: 7F900BC8
	v_cvt_f32_i32_e32 v201, v201                               // 0000000087A8: 7F920BC9
	v_cvt_f32_i32_e32 v202, v202                               // 0000000087AC: 7F940BCA
	v_cvt_f32_i32_e32 v203, v203                               // 0000000087B0: 7F960BCB
	v_mul_f32_e32 v200, v22, v200                              // 0000000087B4: 0B919116
	v_mul_f32_e32 v201, v22, v201                              // 0000000087B8: 0B939316
	v_mul_f32_e32 v202, v22, v202                              // 0000000087BC: 0B959516
	v_mul_f32_e32 v203, v22, v203                              // 0000000087C0: 0B979716
	v_mul_f32_dpp v200, v12, v200 row_newbcast:8 row_mask:0xf bank_mask:0xf// 0000000087C4: 0B9190FA FF01580C
	v_mul_f32_dpp v201, v12, v201 row_newbcast:9 row_mask:0xf bank_mask:0xf// 0000000087CC: 0B9392FA FF01590C
	v_mul_f32_dpp v202, v12, v202 row_newbcast:10 row_mask:0xf bank_mask:0xf// 0000000087D4: 0B9594FA FF015A0C
	v_mul_f32_dpp v203, v12, v203 row_newbcast:11 row_mask:0xf bank_mask:0xf// 0000000087DC: 0B9796FA FF015B0C
	v_mul_f32_e32 v200, v17, v200                              // 0000000087E4: 0B919111
	v_mul_f32_e32 v201, v17, v201                              // 0000000087E8: 0B939311
	v_mul_f32_e32 v202, v17, v202                              // 0000000087EC: 0B959511
	v_mul_f32_e32 v203, v17, v203                              // 0000000087F0: 0B979711
	v_cvt_f32_i32_e32 v204, v204                               // 0000000087F4: 7F980BCC
	v_cvt_f32_i32_e32 v205, v205                               // 0000000087F8: 7F9A0BCD
	v_cvt_f32_i32_e32 v206, v206                               // 0000000087FC: 7F9C0BCE
	v_cvt_f32_i32_e32 v207, v207                               // 000000008800: 7F9E0BCF
	v_mul_f32_e32 v204, v23, v204                              // 000000008804: 0B999917
	v_mul_f32_e32 v205, v23, v205                              // 000000008808: 0B9B9B17
	v_mul_f32_e32 v206, v23, v206                              // 00000000880C: 0B9D9D17
	v_mul_f32_e32 v207, v23, v207                              // 000000008810: 0B9F9F17
	v_mul_f32_dpp v204, v12, v204 row_newbcast:8 row_mask:0xf bank_mask:0xf// 000000008814: 0B9998FA FF01580C
	v_mul_f32_dpp v205, v12, v205 row_newbcast:9 row_mask:0xf bank_mask:0xf// 00000000881C: 0B9B9AFA FF01590C
	v_mul_f32_dpp v206, v12, v206 row_newbcast:10 row_mask:0xf bank_mask:0xf// 000000008824: 0B9D9CFA FF015A0C
	v_mul_f32_dpp v207, v12, v207 row_newbcast:11 row_mask:0xf bank_mask:0xf// 00000000882C: 0B9F9EFA FF015B0C
	v_mul_f32_e32 v204, v18, v204                              // 000000008834: 0B999912
	v_mul_f32_e32 v205, v18, v205                              // 000000008838: 0B9B9B12
	v_mul_f32_e32 v206, v18, v206                              // 00000000883C: 0B9D9D12
	v_mul_f32_e32 v207, v18, v207                              // 000000008840: 0B9F9F12
	v_cvt_f32_i32_e32 v208, v208                               // 000000008844: 7FA00BD0
	v_cvt_f32_i32_e32 v209, v209                               // 000000008848: 7FA20BD1
	v_cvt_f32_i32_e32 v210, v210                               // 00000000884C: 7FA40BD2
	v_cvt_f32_i32_e32 v211, v211                               // 000000008850: 7FA60BD3
	v_mul_f32_e32 v208, v22, v208                              // 000000008854: 0BA1A116
	v_mul_f32_e32 v209, v22, v209                              // 000000008858: 0BA3A316
	v_mul_f32_e32 v210, v22, v210                              // 00000000885C: 0BA5A516
	v_mul_f32_e32 v211, v22, v211                              // 000000008860: 0BA7A716
	v_mul_f32_dpp v208, v12, v208 row_newbcast:12 row_mask:0xf bank_mask:0xf// 000000008864: 0BA1A0FA FF015C0C
	v_mul_f32_dpp v209, v12, v209 row_newbcast:13 row_mask:0xf bank_mask:0xf// 00000000886C: 0BA3A2FA FF015D0C
	v_mul_f32_dpp v210, v12, v210 row_newbcast:14 row_mask:0xf bank_mask:0xf// 000000008874: 0BA5A4FA FF015E0C
	v_mul_f32_dpp v211, v12, v211 row_newbcast:15 row_mask:0xf bank_mask:0xf// 00000000887C: 0BA7A6FA FF015F0C
	v_mul_f32_e32 v208, v17, v208                              // 000000008884: 0BA1A111
	v_mul_f32_e32 v209, v17, v209                              // 000000008888: 0BA3A311
	v_mul_f32_e32 v210, v17, v210                              // 00000000888C: 0BA5A511
	v_mul_f32_e32 v211, v17, v211                              // 000000008890: 0BA7A711
	v_cvt_f32_i32_e32 v212, v212                               // 000000008894: 7FA80BD4
	v_cvt_f32_i32_e32 v213, v213                               // 000000008898: 7FAA0BD5
	v_cvt_f32_i32_e32 v214, v214                               // 00000000889C: 7FAC0BD6
	v_cvt_f32_i32_e32 v215, v215                               // 0000000088A0: 7FAE0BD7
	v_mul_f32_e32 v212, v23, v212                              // 0000000088A4: 0BA9A917
	v_mul_f32_e32 v213, v23, v213                              // 0000000088A8: 0BABAB17
	v_mul_f32_e32 v214, v23, v214                              // 0000000088AC: 0BADAD17
	v_mul_f32_e32 v215, v23, v215                              // 0000000088B0: 0BAFAF17
	v_mul_f32_dpp v212, v12, v212 row_newbcast:12 row_mask:0xf bank_mask:0xf// 0000000088B4: 0BA9A8FA FF015C0C
	v_mul_f32_dpp v213, v12, v213 row_newbcast:13 row_mask:0xf bank_mask:0xf// 0000000088BC: 0BABAAFA FF015D0C
	v_mul_f32_dpp v214, v12, v214 row_newbcast:14 row_mask:0xf bank_mask:0xf// 0000000088C4: 0BADACFA FF015E0C
	v_mul_f32_dpp v215, v12, v215 row_newbcast:15 row_mask:0xf bank_mask:0xf// 0000000088CC: 0BAFAEFA FF015F0C
	v_mul_f32_e32 v212, v18, v212                              // 0000000088D4: 0BA9A912
	v_mul_f32_e32 v213, v18, v213                              // 0000000088D8: 0BABAB12
	v_mul_f32_e32 v214, v18, v214                              // 0000000088DC: 0BADAD12
	v_mul_f32_e32 v215, v18, v215                              // 0000000088E0: 0BAFAF12
	v_cmp_u_f32_e64 s[48:49], v184, v184                       // 0000000088E4: D0480030 000371B8
	v_add3_u32 v39, v184, v42, 1                               // 0000000088EC: D1FF0027 020655B8
	v_cndmask_b32_e64 v44, v39, v41, s[48:49]                  // 0000000088F4: D100002C 00C25327
	v_cmp_u_f32_e64 s[48:49], v185, v185                       // 0000000088FC: D0480030 000373B9
	v_add3_u32 v39, v185, v42, 1                               // 000000008904: D1FF0027 020655B9
	v_cndmask_b32_e64 v45, v39, v41, s[48:49]                  // 00000000890C: D100002D 00C25327
	v_perm_b32 v184, v45, v44, s52                             // 000000008914: D1ED00B8 00D2592D
	v_cmp_u_f32_e64 s[48:49], v186, v186                       // 00000000891C: D0480030 000375BA
	v_add3_u32 v39, v186, v42, 1                               // 000000008924: D1FF0027 020655BA
	v_cndmask_b32_e64 v44, v39, v41, s[48:49]                  // 00000000892C: D100002C 00C25327
	v_cmp_u_f32_e64 s[48:49], v187, v187                       // 000000008934: D0480030 000377BB
	v_add3_u32 v39, v187, v42, 1                               // 00000000893C: D1FF0027 020655BB
	v_cndmask_b32_e64 v45, v39, v41, s[48:49]                  // 000000008944: D100002D 00C25327
	v_perm_b32 v185, v45, v44, s52                             // 00000000894C: D1ED00B9 00D2592D
	v_cmp_u_f32_e64 s[48:49], v188, v188                       // 000000008954: D0480030 000379BC
	v_add3_u32 v39, v188, v42, 1                               // 00000000895C: D1FF0027 020655BC
	v_cndmask_b32_e64 v44, v39, v41, s[48:49]                  // 000000008964: D100002C 00C25327
	v_cmp_u_f32_e64 s[48:49], v189, v189                       // 00000000896C: D0480030 00037BBD
	v_add3_u32 v39, v189, v42, 1                               // 000000008974: D1FF0027 020655BD
	v_cndmask_b32_e64 v45, v39, v41, s[48:49]                  // 00000000897C: D100002D 00C25327
	v_perm_b32 v186, v45, v44, s52                             // 000000008984: D1ED00BA 00D2592D
	v_cmp_u_f32_e64 s[48:49], v190, v190                       // 00000000898C: D0480030 00037DBE
	v_add3_u32 v39, v190, v42, 1                               // 000000008994: D1FF0027 020655BE
	v_cndmask_b32_e64 v44, v39, v41, s[48:49]                  // 00000000899C: D100002C 00C25327
	v_cmp_u_f32_e64 s[48:49], v191, v191                       // 0000000089A4: D0480030 00037FBF
	v_add3_u32 v39, v191, v42, 1                               // 0000000089AC: D1FF0027 020655BF
	v_cndmask_b32_e64 v45, v39, v41, s[48:49]                  // 0000000089B4: D100002D 00C25327
	v_perm_b32 v187, v45, v44, s52                             // 0000000089BC: D1ED00BB 00D2592D
	v_cmp_u_f32_e64 s[48:49], v192, v192                       // 0000000089C4: D0480030 000381C0
	v_add3_u32 v39, v192, v42, 1                               // 0000000089CC: D1FF0027 020655C0
	v_cndmask_b32_e64 v44, v39, v41, s[48:49]                  // 0000000089D4: D100002C 00C25327
	v_cmp_u_f32_e64 s[48:49], v193, v193                       // 0000000089DC: D0480030 000383C1
	v_add3_u32 v39, v193, v42, 1                               // 0000000089E4: D1FF0027 020655C1
	v_cndmask_b32_e64 v45, v39, v41, s[48:49]                  // 0000000089EC: D100002D 00C25327
	v_perm_b32 v188, v45, v44, s52                             // 0000000089F4: D1ED00BC 00D2592D
	v_cmp_u_f32_e64 s[48:49], v194, v194                       // 0000000089FC: D0480030 000385C2
	v_add3_u32 v39, v194, v42, 1                               // 000000008A04: D1FF0027 020655C2
	v_cndmask_b32_e64 v44, v39, v41, s[48:49]                  // 000000008A0C: D100002C 00C25327
	v_cmp_u_f32_e64 s[48:49], v195, v195                       // 000000008A14: D0480030 000387C3
	v_add3_u32 v39, v195, v42, 1                               // 000000008A1C: D1FF0027 020655C3
	v_cndmask_b32_e64 v45, v39, v41, s[48:49]                  // 000000008A24: D100002D 00C25327
	v_perm_b32 v189, v45, v44, s52                             // 000000008A2C: D1ED00BD 00D2592D
	v_cmp_u_f32_e64 s[48:49], v196, v196                       // 000000008A34: D0480030 000389C4
	v_add3_u32 v39, v196, v42, 1                               // 000000008A3C: D1FF0027 020655C4
	v_cndmask_b32_e64 v44, v39, v41, s[48:49]                  // 000000008A44: D100002C 00C25327
	v_cmp_u_f32_e64 s[48:49], v197, v197                       // 000000008A4C: D0480030 00038BC5
	v_add3_u32 v39, v197, v42, 1                               // 000000008A54: D1FF0027 020655C5
	v_cndmask_b32_e64 v45, v39, v41, s[48:49]                  // 000000008A5C: D100002D 00C25327
	v_perm_b32 v190, v45, v44, s52                             // 000000008A64: D1ED00BE 00D2592D
	v_cmp_u_f32_e64 s[48:49], v198, v198                       // 000000008A6C: D0480030 00038DC6
	v_add3_u32 v39, v198, v42, 1                               // 000000008A74: D1FF0027 020655C6
	v_cndmask_b32_e64 v44, v39, v41, s[48:49]                  // 000000008A7C: D100002C 00C25327
	v_cmp_u_f32_e64 s[48:49], v199, v199                       // 000000008A84: D0480030 00038FC7
	v_add3_u32 v39, v199, v42, 1                               // 000000008A8C: D1FF0027 020655C7
	v_cndmask_b32_e64 v45, v39, v41, s[48:49]                  // 000000008A94: D100002D 00C25327
	v_perm_b32 v191, v45, v44, s52                             // 000000008A9C: D1ED00BF 00D2592D
	v_cmp_u_f32_e64 s[48:49], v200, v200                       // 000000008AA4: D0480030 000391C8
	v_add3_u32 v39, v200, v42, 1                               // 000000008AAC: D1FF0027 020655C8
	v_cndmask_b32_e64 v44, v39, v41, s[48:49]                  // 000000008AB4: D100002C 00C25327
	v_cmp_u_f32_e64 s[48:49], v201, v201                       // 000000008ABC: D0480030 000393C9
	v_add3_u32 v39, v201, v42, 1                               // 000000008AC4: D1FF0027 020655C9
	v_cndmask_b32_e64 v45, v39, v41, s[48:49]                  // 000000008ACC: D100002D 00C25327
	v_perm_b32 v192, v45, v44, s52                             // 000000008AD4: D1ED00C0 00D2592D
	v_cmp_u_f32_e64 s[48:49], v202, v202                       // 000000008ADC: D0480030 000395CA
	v_add3_u32 v39, v202, v42, 1                               // 000000008AE4: D1FF0027 020655CA
	v_cndmask_b32_e64 v44, v39, v41, s[48:49]                  // 000000008AEC: D100002C 00C25327
	v_cmp_u_f32_e64 s[48:49], v203, v203                       // 000000008AF4: D0480030 000397CB
	v_add3_u32 v39, v203, v42, 1                               // 000000008AFC: D1FF0027 020655CB
	v_cndmask_b32_e64 v45, v39, v41, s[48:49]                  // 000000008B04: D100002D 00C25327
	v_perm_b32 v193, v45, v44, s52                             // 000000008B0C: D1ED00C1 00D2592D
	v_cmp_u_f32_e64 s[48:49], v204, v204                       // 000000008B14: D0480030 000399CC
	v_add3_u32 v39, v204, v42, 1                               // 000000008B1C: D1FF0027 020655CC
	v_cndmask_b32_e64 v44, v39, v41, s[48:49]                  // 000000008B24: D100002C 00C25327
	v_cmp_u_f32_e64 s[48:49], v205, v205                       // 000000008B2C: D0480030 00039BCD
	v_add3_u32 v39, v205, v42, 1                               // 000000008B34: D1FF0027 020655CD
	v_cndmask_b32_e64 v45, v39, v41, s[48:49]                  // 000000008B3C: D100002D 00C25327
	v_perm_b32 v194, v45, v44, s52                             // 000000008B44: D1ED00C2 00D2592D
	v_cmp_u_f32_e64 s[48:49], v206, v206                       // 000000008B4C: D0480030 00039DCE
	v_add3_u32 v39, v206, v42, 1                               // 000000008B54: D1FF0027 020655CE
	v_cndmask_b32_e64 v44, v39, v41, s[48:49]                  // 000000008B5C: D100002C 00C25327
	v_cmp_u_f32_e64 s[48:49], v207, v207                       // 000000008B64: D0480030 00039FCF
	v_add3_u32 v39, v207, v42, 1                               // 000000008B6C: D1FF0027 020655CF
	v_cndmask_b32_e64 v45, v39, v41, s[48:49]                  // 000000008B74: D100002D 00C25327
	v_perm_b32 v195, v45, v44, s52                             // 000000008B7C: D1ED00C3 00D2592D
	v_cmp_u_f32_e64 s[48:49], v208, v208                       // 000000008B84: D0480030 0003A1D0
	v_add3_u32 v39, v208, v42, 1                               // 000000008B8C: D1FF0027 020655D0
	v_cndmask_b32_e64 v44, v39, v41, s[48:49]                  // 000000008B94: D100002C 00C25327
	v_cmp_u_f32_e64 s[48:49], v209, v209                       // 000000008B9C: D0480030 0003A3D1
	v_add3_u32 v39, v209, v42, 1                               // 000000008BA4: D1FF0027 020655D1
	v_cndmask_b32_e64 v45, v39, v41, s[48:49]                  // 000000008BAC: D100002D 00C25327
	v_perm_b32 v196, v45, v44, s52                             // 000000008BB4: D1ED00C4 00D2592D
	v_cmp_u_f32_e64 s[48:49], v210, v210                       // 000000008BBC: D0480030 0003A5D2
	v_add3_u32 v39, v210, v42, 1                               // 000000008BC4: D1FF0027 020655D2
	v_cndmask_b32_e64 v44, v39, v41, s[48:49]                  // 000000008BCC: D100002C 00C25327
	v_cmp_u_f32_e64 s[48:49], v211, v211                       // 000000008BD4: D0480030 0003A7D3
	v_add3_u32 v39, v211, v42, 1                               // 000000008BDC: D1FF0027 020655D3
	v_cndmask_b32_e64 v45, v39, v41, s[48:49]                  // 000000008BE4: D100002D 00C25327
	v_perm_b32 v197, v45, v44, s52                             // 000000008BEC: D1ED00C5 00D2592D
	v_cmp_u_f32_e64 s[48:49], v212, v212                       // 000000008BF4: D0480030 0003A9D4
	v_add3_u32 v39, v212, v42, 1                               // 000000008BFC: D1FF0027 020655D4
	v_cndmask_b32_e64 v44, v39, v41, s[48:49]                  // 000000008C04: D100002C 00C25327
	v_cmp_u_f32_e64 s[48:49], v213, v213                       // 000000008C0C: D0480030 0003ABD5
	v_add3_u32 v39, v213, v42, 1                               // 000000008C14: D1FF0027 020655D5
	v_cndmask_b32_e64 v45, v39, v41, s[48:49]                  // 000000008C1C: D100002D 00C25327
	v_perm_b32 v198, v45, v44, s52                             // 000000008C24: D1ED00C6 00D2592D
	v_cmp_u_f32_e64 s[48:49], v214, v214                       // 000000008C2C: D0480030 0003ADD6
	v_add3_u32 v39, v214, v42, 1                               // 000000008C34: D1FF0027 020655D6
	v_cndmask_b32_e64 v44, v39, v41, s[48:49]                  // 000000008C3C: D100002C 00C25327
	v_cmp_u_f32_e64 s[48:49], v215, v215                       // 000000008C44: D0480030 0003AFD7
	v_add3_u32 v39, v215, v42, 1                               // 000000008C4C: D1FF0027 020655D7
	v_cndmask_b32_e64 v45, v39, v41, s[48:49]                  // 000000008C54: D100002D 00C25327
	v_perm_b32 v199, v45, v44, s52                             // 000000008C5C: D1ED00C7 00D2592D
	ds_write_b64 v3, v[184:185] offset:24832                   // 000000008C64: D89A6100 0000B803
	ds_write_b64 v3, v[186:187] offset:33536                   // 000000008C6C: D89A8300 0000BA03
	ds_write_b64 v3, v[188:189] offset:27008                   // 000000008C74: D89A6980 0000BC03
	ds_write_b64 v3, v[190:191] offset:35712                   // 000000008C7C: D89A8B80 0000BE03
	ds_write_b64 v3, v[192:193] offset:29184                   // 000000008C84: D89A7200 0000C003
	ds_write_b64 v3, v[194:195] offset:37888                   // 000000008C8C: D89A9400 0000C203
	ds_write_b64 v3, v[196:197] offset:31360                   // 000000008C94: D89A7A80 0000C403
	ds_write_b64 v3, v[198:199] offset:40064                   // 000000008C9C: D89A9C80 0000C603
	s_waitcnt lgkmcnt(0)                                       // 000000008CA4: BF8CC07F
	s_barrier                                                  // 000000008CA8: BF8A0000
	ds_read_b32 v64, v4 offset:24832                           // 000000008CAC: D86C6100 40000004
	ds_read_b32 v65, v4 offset:29184                           // 000000008CB4: D86C7200 41000004
	ds_read_b32 v66, v4 offset:24864                           // 000000008CBC: D86C6120 42000004
	ds_read_b32 v67, v4 offset:29216                           // 000000008CC4: D86C7220 43000004
	ds_read_b32 v68, v4 offset:24896                           // 000000008CCC: D86C6140 44000004
	ds_read_b32 v69, v4 offset:29248                           // 000000008CD4: D86C7240 45000004
	ds_read_b32 v70, v4 offset:24928                           // 000000008CDC: D86C6160 46000004
	ds_read_b32 v71, v4 offset:29280                           // 000000008CE4: D86C7260 47000004
	ds_read_b32 v72, v4 offset:33536                           // 000000008CEC: D86C8300 48000004
	ds_read_b32 v73, v4 offset:37888                           // 000000008CF4: D86C9400 49000004
	ds_read_b32 v74, v4 offset:33568                           // 000000008CFC: D86C8320 4A000004
	ds_read_b32 v75, v4 offset:37920                           // 000000008D04: D86C9420 4B000004
	ds_read_b32 v76, v4 offset:33600                           // 000000008D0C: D86C8340 4C000004
	ds_read_b32 v77, v4 offset:37952                           // 000000008D14: D86C9440 4D000004
	ds_read_b32 v78, v4 offset:33632                           // 000000008D1C: D86C8360 4E000004
	ds_read_b32 v79, v4 offset:37984                           // 000000008D24: D86C9460 4F000004
	s_waitcnt lgkmcnt(0)                                       // 000000008D2C: BF8CC07F
	s_mov_b64 exec, s[20:21]                                   // 000000008D30: BEFE0114
	global_atomic_pk_add_bf16 v80, v64, s[8:9]                 // 000000008D34: DD488000 00084050
	s_mov_b64 exec, s[36:37]                                   // 000000008D3C: BEFE0124
	s_mov_b64 exec, s[20:21]                                   // 000000008D40: BEFE0114
	global_atomic_pk_add_bf16 v80, v65, s[8:9] offset:256      // 000000008D44: DD488100 00084150
	s_mov_b64 exec, s[36:37]                                   // 000000008D4C: BEFE0124
	s_mov_b64 exec, s[22:23]                                   // 000000008D50: BEFE0116
	global_atomic_pk_add_bf16 v82, v66, s[8:9]                 // 000000008D54: DD488000 00084252
	s_mov_b64 exec, s[36:37]                                   // 000000008D5C: BEFE0124
	s_mov_b64 exec, s[22:23]                                   // 000000008D60: BEFE0116
	global_atomic_pk_add_bf16 v82, v67, s[8:9] offset:256      // 000000008D64: DD488100 00084352
	s_mov_b64 exec, s[36:37]                                   // 000000008D6C: BEFE0124
	s_mov_b64 exec, s[24:25]                                   // 000000008D70: BEFE0118
	global_atomic_pk_add_bf16 v84, v68, s[8:9]                 // 000000008D74: DD488000 00084454
	s_mov_b64 exec, s[36:37]                                   // 000000008D7C: BEFE0124
	s_mov_b64 exec, s[24:25]                                   // 000000008D80: BEFE0118
	global_atomic_pk_add_bf16 v84, v69, s[8:9] offset:256      // 000000008D84: DD488100 00084554
	s_mov_b64 exec, s[36:37]                                   // 000000008D8C: BEFE0124
	s_mov_b64 exec, s[26:27]                                   // 000000008D90: BEFE011A
	global_atomic_pk_add_bf16 v86, v70, s[8:9]                 // 000000008D94: DD488000 00084656
	s_mov_b64 exec, s[36:37]                                   // 000000008D9C: BEFE0124
	s_mov_b64 exec, s[26:27]                                   // 000000008DA0: BEFE011A
	global_atomic_pk_add_bf16 v86, v71, s[8:9] offset:256      // 000000008DA4: DD488100 00084756
	s_mov_b64 exec, s[36:37]                                   // 000000008DAC: BEFE0124
	s_mov_b64 exec, s[28:29]                                   // 000000008DB0: BEFE011C
	global_atomic_pk_add_bf16 v88, v72, s[8:9]                 // 000000008DB4: DD488000 00084858
	s_mov_b64 exec, s[36:37]                                   // 000000008DBC: BEFE0124
	s_mov_b64 exec, s[28:29]                                   // 000000008DC0: BEFE011C
	global_atomic_pk_add_bf16 v88, v73, s[8:9] offset:256      // 000000008DC4: DD488100 00084958
	s_mov_b64 exec, s[36:37]                                   // 000000008DCC: BEFE0124
	s_mov_b64 exec, s[30:31]                                   // 000000008DD0: BEFE011E
	global_atomic_pk_add_bf16 v90, v74, s[8:9]                 // 000000008DD4: DD488000 00084A5A
	s_mov_b64 exec, s[36:37]                                   // 000000008DDC: BEFE0124
	s_mov_b64 exec, s[30:31]                                   // 000000008DE0: BEFE011E
	global_atomic_pk_add_bf16 v90, v75, s[8:9] offset:256      // 000000008DE4: DD488100 00084B5A
	s_mov_b64 exec, s[36:37]                                   // 000000008DEC: BEFE0124
	s_mov_b64 exec, s[32:33]                                   // 000000008DF0: BEFE0120
	global_atomic_pk_add_bf16 v92, v76, s[8:9]                 // 000000008DF4: DD488000 00084C5C
	s_mov_b64 exec, s[36:37]                                   // 000000008DFC: BEFE0124
	s_mov_b64 exec, s[32:33]                                   // 000000008E00: BEFE0120
	global_atomic_pk_add_bf16 v92, v77, s[8:9] offset:256      // 000000008E04: DD488100 00084D5C
	s_mov_b64 exec, s[36:37]                                   // 000000008E0C: BEFE0124
	s_mov_b64 exec, s[34:35]                                   // 000000008E10: BEFE0122
	global_atomic_pk_add_bf16 v94, v78, s[8:9]                 // 000000008E14: DD488000 00084E5E
	s_mov_b64 exec, s[36:37]                                   // 000000008E1C: BEFE0124
	s_mov_b64 exec, s[34:35]                                   // 000000008E20: BEFE0122
	global_atomic_pk_add_bf16 v94, v79, s[8:9] offset:256      // 000000008E24: DD488100 00084F5E
	s_mov_b64 exec, s[36:37]                                   // 000000008E2C: BEFE0124
	s_add_u32 s8, s59, s8                                      // 000000008E30: 8008083B
	s_addc_u32 s9, 0, s9                                       // 000000008E34: 82090980
	s_addk_i32 s80, 0x100                                      // 000000008E38: B7500100
	s_cmp_lt_i32 s80, s81                                      // 000000008E3C: BF045150
	s_cbranch_scc0 label_0D32                                  // 000000008E40: BF84F521
	s_branch label_1309                                        // 000000008E44: BF82FAF7

0000000000008e48 <label_1812>:
	s_waitcnt vmcnt(0) expcnt(0) lgkmcnt(0)                    // 000000008E48: BF8C0000
	s_endpgm                                                   // 000000008E4C: BF810000
